;; amdgpu-corpus repo=ROCm/rocFFT kind=compiled arch=gfx950 opt=O3
	.text
	.amdgcn_target "amdgcn-amd-amdhsa--gfx950"
	.amdhsa_code_object_version 6
	.protected	bluestein_single_back_len432_dim1_dp_op_CI_CI ; -- Begin function bluestein_single_back_len432_dim1_dp_op_CI_CI
	.globl	bluestein_single_back_len432_dim1_dp_op_CI_CI
	.p2align	8
	.type	bluestein_single_back_len432_dim1_dp_op_CI_CI,@function
bluestein_single_back_len432_dim1_dp_op_CI_CI: ; @bluestein_single_back_len432_dim1_dp_op_CI_CI
; %bb.0:
	s_load_dwordx4 s[12:15], s[0:1], 0x28
	v_mul_u32_u24_e32 v1, 0x97c, v0
	v_lshrrev_b32_e32 v12, 16, v1
	v_mov_b32_e32 v33, 0
	v_lshl_add_u32 v34, s2, 1, v12
	v_mov_b32_e32 v35, v33
	s_waitcnt lgkmcnt(0)
	v_cmp_gt_u64_e32 vcc, s[12:13], v[34:35]
	s_and_saveexec_b64 s[2:3], vcc
	s_cbranch_execz .LBB0_31
; %bb.1:
	s_load_dwordx4 s[4:7], s[0:1], 0x18
	s_load_dwordx2 s[12:13], s[0:1], 0x0
	v_mul_lo_u16_e32 v1, 27, v12
	v_sub_u16_e32 v32, v0, v1
	v_mov_b32_e32 v2, s14
	s_waitcnt lgkmcnt(0)
	s_load_dwordx4 s[8:11], s[4:5], 0x0
	v_mov_b32_e32 v3, s15
	v_or_b32_e32 v8, 0x120, v32
	v_lshlrev_b32_e32 v24, 4, v32
	v_mov_b32_e32 v25, v33
	s_waitcnt lgkmcnt(0)
	v_mad_u64_u32 v[0:1], s[2:3], s10, v34, 0
	v_mov_b32_e32 v4, v1
	v_mad_u64_u32 v[4:5], s[2:3], s11, v34, v[4:5]
	v_mov_b32_e32 v1, v4
	;; [unrolled: 2-line block ×3, first 2 shown]
	v_mad_u64_u32 v[6:7], s[2:3], s9, v32, v[6:7]
	s_mul_i32 s2, s9, 0x90
	s_mul_hi_u32 s3, s8, 0x90
	v_mov_b32_e32 v5, v6
	v_lshl_add_u64 v[0:1], v[0:1], 4, v[2:3]
	s_add_i32 s3, s3, s2
	s_mul_i32 s2, s8, 0x90
	v_lshl_add_u64 v[2:3], v[4:5], 4, v[0:1]
	s_lshl_b64 s[10:11], s[2:3], 4
	v_lshl_add_u64 v[4:5], v[2:3], 0, s[10:11]
	global_load_dwordx4 v[64:67], v[2:3], off
	global_load_dwordx4 v[60:63], v[4:5], off
	global_load_dwordx4 v[52:55], v24, s[12:13] offset:2304
	v_mad_u64_u32 v[2:3], s[2:3], s8, v8, 0
	v_mov_b32_e32 v6, v3
	v_mad_u64_u32 v[6:7], s[2:3], s9, v8, v[6:7]
	v_mov_b32_e32 v3, v6
	v_lshl_add_u64 v[0:1], v[2:3], 4, v[0:1]
	global_load_dwordx4 v[68:71], v[0:1], off
	v_lshlrev_b32_e32 v0, 4, v8
	global_load_dwordx4 v[56:59], v24, s[12:13]
	global_load_dwordx4 v[92:95], v0, s[12:13]
	v_accvgpr_write_b32 a66, v0
	v_mov_b32_e32 v0, 0xfffff8b0
	v_mad_u64_u32 v[0:1], s[2:3], s8, v0, v[4:5]
	s_mul_i32 s2, s9, 0xfffff8b0
	s_sub_i32 s2, s2, s8
	v_add_u32_e32 v1, s2, v1
	global_load_dwordx4 v[72:75], v[0:1], off
	global_load_dwordx4 v[96:99], v24, s[12:13] offset:432
	v_lshl_add_u64 v[14:15], s[12:13], 0, v[24:25]
	v_accvgpr_write_b32 a6, v8
	v_lshl_add_u64 v[8:9], v[0:1], 0, s[10:11]
	s_movk_i32 s2, 0x1000
	s_mul_hi_u32 s3, s8, 0xfffffefb
	v_lshl_add_u64 v[10:11], v[8:9], 0, s[10:11]
	global_load_dwordx4 v[4:7], v[8:9], off
	global_load_dwordx4 v[0:3], v[10:11], off
	v_add_co_u32_e32 v8, vcc, s2, v14
	s_mul_i32 s2, s9, 0xfffffefb
	s_sub_i32 s3, s3, s8
	v_addc_co_u32_e32 v9, vcc, 0, v15, vcc
	global_load_dwordx4 v[104:107], v24, s[12:13] offset:2736
	global_load_dwordx4 v[100:103], v[8:9], off offset:944
	s_add_i32 s9, s3, s2
	s_mulk_i32 s8, 0xfefb
	s_lshl_b64 s[2:3], s[8:9], 4
	v_accvgpr_write_b32 a0, v14
	v_lshl_add_u64 v[10:11], v[10:11], 0, s[2:3]
	v_accvgpr_write_b32 a1, v15
	global_load_dwordx4 v[14:17], v[10:11], off
	global_load_dwordx4 v[108:111], v24, s[12:13] offset:864
	v_lshl_add_u64 v[10:11], v[10:11], 0, s[10:11]
	global_load_dwordx4 v[18:21], v[10:11], off
	global_load_dwordx4 v[112:115], v24, s[12:13] offset:3168
	v_lshl_add_u64 v[10:11], v[10:11], 0, s[10:11]
	global_load_dwordx4 v[26:29], v[10:11], off
	global_load_dwordx4 v[116:119], v[8:9], off offset:1376
	v_lshl_add_u64 v[10:11], v[10:11], 0, s[2:3]
	global_load_dwordx4 v[36:39], v[10:11], off
	global_load_dwordx4 v[124:127], v24, s[12:13] offset:1296
	v_lshl_add_u64 v[10:11], v[10:11], 0, s[10:11]
	global_load_dwordx4 v[40:43], v[10:11], off
	global_load_dwordx4 v[120:123], v24, s[12:13] offset:3600
	v_lshl_add_u64 v[10:11], v[10:11], 0, s[10:11]
	global_load_dwordx4 v[44:47], v[10:11], off
	global_load_dwordx4 v[128:131], v[8:9], off offset:1808
	v_lshl_add_u64 v[10:11], v[10:11], 0, s[2:3]
	global_load_dwordx4 v[76:79], v[10:11], off
	global_load_dwordx4 v[132:135], v24, s[12:13] offset:1728
	v_lshl_add_u64 v[10:11], v[10:11], 0, s[10:11]
	global_load_dwordx4 v[80:83], v[10:11], off
	global_load_dwordx4 v[136:139], v24, s[12:13] offset:4032
	v_lshl_add_u64 v[10:11], v[10:11], 0, s[10:11]
	global_load_dwordx4 v[84:87], v[10:11], off
	global_load_dwordx4 v[140:143], v[8:9], off offset:2240
	v_and_b32_e32 v12, 1, v12
	v_mov_b32_e32 v13, 0x1b0
	v_cmp_eq_u32_e32 vcc, 1, v12
	s_load_dwordx2 s[2:3], s[0:1], 0x38
	s_nop 0
	s_load_dwordx4 s[4:7], s[6:7], 0x0
	v_cndmask_b32_e32 v25, 0, v13, vcc
	v_lshlrev_b32_e32 v35, 4, v25
	v_add_u32_e32 v50, v35, v24
	v_cmp_gt_u16_e32 vcc, 9, v32
	s_waitcnt vmcnt(27)
	v_accvgpr_write_b32 a2, v52
	v_accvgpr_write_b32 a3, v53
	;; [unrolled: 1-line block ×4, first 2 shown]
	s_waitcnt vmcnt(25)
	v_mul_f64 v[88:89], v[66:67], v[58:59]
	v_mul_f64 v[12:13], v[64:65], v[58:59]
	v_fmac_f64_e32 v[88:89], v[64:65], v[56:57]
	v_fma_f64 v[90:91], v[66:67], v[56:57], -v[12:13]
	v_mul_f64 v[64:65], v[62:63], v[54:55]
	v_mul_f64 v[12:13], v[60:61], v[54:55]
	v_fmac_f64_e32 v[64:65], v[60:61], v[52:53]
	v_fma_f64 v[66:67], v[62:63], v[52:53], -v[12:13]
	s_waitcnt vmcnt(24)
	v_mul_f64 v[60:61], v[70:71], v[94:95]
	v_mul_f64 v[12:13], v[68:69], v[94:95]
	v_fmac_f64_e32 v[60:61], v[68:69], v[92:93]
	v_fma_f64 v[62:63], v[70:71], v[92:93], -v[12:13]
	ds_write_b128 v50, v[60:63] offset:4608
	s_waitcnt vmcnt(22)
	v_mul_f64 v[60:61], v[74:75], v[98:99]
	v_mul_f64 v[12:13], v[72:73], v[98:99]
	v_fmac_f64_e32 v[60:61], v[72:73], v[96:97]
	v_fma_f64 v[62:63], v[74:75], v[96:97], -v[12:13]
	ds_write_b128 v50, v[60:63] offset:432
	v_accvgpr_write_b32 a8, v92
	v_accvgpr_write_b32 a12, v96
	;; [unrolled: 1-line block ×4, first 2 shown]
	s_waitcnt vmcnt(19)
	v_mul_f64 v[60:61], v[6:7], v[106:107]
	v_fmac_f64_e32 v[60:61], v[4:5], v[104:105]
	v_mul_f64 v[4:5], v[4:5], v[106:107]
	v_fma_f64 v[62:63], v[6:7], v[104:105], -v[4:5]
	s_waitcnt vmcnt(18)
	v_mul_f64 v[4:5], v[2:3], v[102:103]
	v_fmac_f64_e32 v[4:5], v[0:1], v[100:101]
	v_mul_f64 v[0:1], v[0:1], v[102:103]
	v_fma_f64 v[6:7], v[2:3], v[100:101], -v[0:1]
	s_waitcnt vmcnt(16)
	v_mul_f64 v[0:1], v[16:17], v[110:111]
	v_mul_f64 v[2:3], v[14:15], v[110:111]
	v_fmac_f64_e32 v[0:1], v[14:15], v[108:109]
	v_fma_f64 v[2:3], v[16:17], v[108:109], -v[2:3]
	ds_write_b128 v50, v[0:3] offset:864
	s_waitcnt vmcnt(14)
	v_mul_f64 v[0:1], v[20:21], v[114:115]
	v_mul_f64 v[2:3], v[18:19], v[114:115]
	v_fmac_f64_e32 v[0:1], v[18:19], v[112:113]
	v_fma_f64 v[2:3], v[20:21], v[112:113], -v[2:3]
	ds_write_b128 v50, v[0:3] offset:3168
	;; [unrolled: 6-line block ×7, first 2 shown]
	s_waitcnt vmcnt(2)
	v_mul_f64 v[0:1], v[82:83], v[138:139]
	v_mul_f64 v[2:3], v[80:81], v[138:139]
	v_fmac_f64_e32 v[0:1], v[80:81], v[136:137]
	v_fma_f64 v[2:3], v[82:83], v[136:137], -v[2:3]
	v_accvgpr_write_b32 a20, v104
	v_accvgpr_write_b32 a16, v100
	;; [unrolled: 1-line block ×10, first 2 shown]
	ds_write_b128 v50, v[0:3] offset:4032
	s_waitcnt vmcnt(0)
	v_mul_f64 v[0:1], v[86:87], v[142:143]
	v_mul_f64 v[2:3], v[84:85], v[142:143]
	v_accvgpr_write_b32 a56, v140
	v_accvgpr_write_b32 a11, v95
	;; [unrolled: 1-line block ×35, first 2 shown]
	v_fmac_f64_e32 v[0:1], v[84:85], v[140:141]
	v_accvgpr_write_b32 a57, v141
	v_accvgpr_write_b32 a58, v142
	;; [unrolled: 1-line block ×3, first 2 shown]
	v_fma_f64 v[2:3], v[86:87], v[140:141], -v[2:3]
	ds_write_b128 v50, v[88:91]
	ds_write_b128 v50, v[64:67] offset:2304
	ds_write_b128 v50, v[60:63] offset:2736
	;; [unrolled: 1-line block ×4, first 2 shown]
	s_and_saveexec_b64 s[14:15], vcc
	s_cbranch_execz .LBB0_3
; %bb.2:
	v_lshl_add_u64 v[14:15], s[8:9], 4, v[10:11]
	v_accvgpr_read_b32 v5, a1
	v_accvgpr_read_b32 v4, a0
	v_lshl_add_u64 v[22:23], v[14:15], 0, s[10:11]
	global_load_dwordx4 v[0:3], v[14:15], off
	s_nop 0
	global_load_dwordx4 v[4:7], v[4:5], off offset:2160
	s_nop 0
	global_load_dwordx4 v[10:13], v[8:9], off offset:368
	global_load_dwordx4 v[14:17], v[22:23], off
	global_load_dwordx4 v[18:21], v[8:9], off offset:2672
	v_lshl_add_u64 v[8:9], v[22:23], 0, s[10:11]
	global_load_dwordx4 v[26:29], v[8:9], off
	s_waitcnt vmcnt(4)
	v_mul_f64 v[36:37], v[2:3], v[6:7]
	v_mul_f64 v[6:7], v[0:1], v[6:7]
	v_fmac_f64_e32 v[36:37], v[0:1], v[4:5]
	v_fma_f64 v[38:39], v[2:3], v[4:5], -v[6:7]
	s_waitcnt vmcnt(2)
	v_mul_f64 v[0:1], v[16:17], v[12:13]
	v_mul_f64 v[2:3], v[14:15], v[12:13]
	s_waitcnt vmcnt(0)
	v_mul_f64 v[4:5], v[28:29], v[20:21]
	v_mul_f64 v[6:7], v[26:27], v[20:21]
	v_fmac_f64_e32 v[0:1], v[14:15], v[10:11]
	v_fma_f64 v[2:3], v[16:17], v[10:11], -v[2:3]
	v_fmac_f64_e32 v[4:5], v[26:27], v[18:19]
	v_fma_f64 v[6:7], v[28:29], v[18:19], -v[6:7]
	ds_write_b128 v50, v[36:39] offset:2160
	ds_write_b128 v50, v[0:3] offset:4464
	;; [unrolled: 1-line block ×3, first 2 shown]
.LBB0_3:
	s_or_b64 exec, exec, s[14:15]
	s_waitcnt lgkmcnt(0)
	; wave barrier
	s_waitcnt lgkmcnt(0)
	ds_read_b128 v[88:91], v50
	ds_read_b128 v[84:87], v50 offset:432
	ds_read_b128 v[16:19], v50 offset:4608
	;; [unrolled: 1-line block ×14, first 2 shown]
	s_load_dwordx2 s[8:9], s[0:1], 0x8
                                        ; implicit-def: $vgpr60_vgpr61
                                        ; implicit-def: $vgpr68_vgpr69
                                        ; implicit-def: $vgpr76_vgpr77
	s_and_saveexec_b64 s[0:1], vcc
	s_cbranch_execz .LBB0_5
; %bb.4:
	ds_read_b128 v[60:63], v50 offset:2160
	ds_read_b128 v[68:71], v50 offset:4464
	;; [unrolled: 1-line block ×3, first 2 shown]
.LBB0_5:
	s_or_b64 exec, exec, s[0:1]
	s_mov_b64 s[0:1], 0x51
	v_lshl_add_u64 v[30:31], v[32:33], 0, s[0:1]
	s_mov_b64 s[0:1], 0x6c
	v_lshl_add_u64 v[28:29], v[32:33], 0, s[0:1]
	;; [unrolled: 2-line block ×3, first 2 shown]
	s_waitcnt lgkmcnt(0)
	v_add_f64 v[38:39], v[20:21], v[16:17]
	s_mov_b32 s0, 0xe8584caa
	v_add_f64 v[36:37], v[88:89], v[20:21]
	v_fmac_f64_e32 v[88:89], -0.5, v[38:39]
	v_add_f64 v[38:39], v[22:23], -v[18:19]
	s_mov_b32 s1, 0x3febb67a
	s_mov_b32 s11, 0xbfebb67a
	;; [unrolled: 1-line block ×3, first 2 shown]
	v_fma_f64 v[40:41], s[0:1], v[38:39], v[88:89]
	v_fmac_f64_e32 v[88:89], s[10:11], v[38:39]
	v_add_f64 v[38:39], v[90:91], v[22:23]
	v_add_f64 v[38:39], v[38:39], v[18:19]
	;; [unrolled: 1-line block ×4, first 2 shown]
	v_fmac_f64_e32 v[90:91], -0.5, v[18:19]
	v_add_f64 v[16:17], v[20:21], -v[16:17]
	v_add_f64 v[18:19], v[12:13], v[8:9]
	v_fma_f64 v[42:43], s[10:11], v[16:17], v[90:91]
	v_fmac_f64_e32 v[90:91], s[0:1], v[16:17]
	v_add_f64 v[16:17], v[84:85], v[12:13]
	v_fmac_f64_e32 v[84:85], -0.5, v[18:19]
	v_add_f64 v[18:19], v[14:15], -v[10:11]
	v_fma_f64 v[20:21], s[0:1], v[18:19], v[84:85]
	v_fmac_f64_e32 v[84:85], s[10:11], v[18:19]
	v_add_f64 v[18:19], v[86:87], v[14:15]
	v_add_f64 v[18:19], v[18:19], v[10:11]
	;; [unrolled: 1-line block ×4, first 2 shown]
	v_fmac_f64_e32 v[86:87], -0.5, v[10:11]
	v_add_f64 v[8:9], v[12:13], -v[8:9]
	v_add_f64 v[10:11], v[0:1], v[4:5]
	v_fma_f64 v[22:23], s[10:11], v[8:9], v[86:87]
	v_fmac_f64_e32 v[86:87], s[0:1], v[8:9]
	v_add_f64 v[8:9], v[80:81], v[0:1]
	v_fmac_f64_e32 v[80:81], -0.5, v[10:11]
	v_add_f64 v[10:11], v[2:3], -v[6:7]
	v_mul_lo_u16_e32 v29, 3, v32
	v_lshl_add_u64 v[198:199], v[32:33], 0, 27
	v_fma_f64 v[12:13], s[0:1], v[10:11], v[80:81]
	v_fmac_f64_e32 v[80:81], s[10:11], v[10:11]
	v_add_f64 v[10:11], v[82:83], v[2:3]
	v_add_f64 v[2:3], v[2:3], v[6:7]
	v_lshl_add_u32 v29, v29, 4, v35
	v_fmac_f64_e32 v[82:83], -0.5, v[2:3]
	v_add_f64 v[0:1], v[0:1], -v[4:5]
	v_add_f64 v[2:3], v[104:105], v[100:101]
	s_waitcnt lgkmcnt(0)
	; wave barrier
	ds_write_b128 v29, v[36:39]
	ds_write_b128 v29, v[40:43] offset:16
	v_accvgpr_write_b32 a7, v29
	ds_write_b128 v29, v[88:91] offset:32
	v_mul_u32_u24_e32 v29, 3, v198
	v_lshl_add_u64 v[196:197], v[32:33], 0, 54
	v_add_f64 v[10:11], v[10:11], v[6:7]
	v_fma_f64 v[14:15], s[10:11], v[0:1], v[82:83]
	v_fmac_f64_e32 v[82:83], s[0:1], v[0:1]
	v_add_f64 v[0:1], v[72:73], v[104:105]
	v_fmac_f64_e32 v[72:73], -0.5, v[2:3]
	v_add_f64 v[2:3], v[106:107], -v[102:103]
	v_add_f64 v[6:7], v[106:107], v[102:103]
	v_lshl_add_u32 v29, v29, 4, v35
	v_add_f64 v[8:9], v[8:9], v[4:5]
	v_fma_f64 v[4:5], s[0:1], v[2:3], v[72:73]
	v_fmac_f64_e32 v[72:73], s[10:11], v[2:3]
	v_add_f64 v[2:3], v[74:75], v[106:107]
	v_fmac_f64_e32 v[74:75], -0.5, v[6:7]
	v_add_f64 v[44:45], v[104:105], -v[100:101]
	v_add_f64 v[46:47], v[92:93], v[96:97]
	ds_write_b128 v29, v[16:19]
	ds_write_b128 v29, v[20:23] offset:16
	v_mul_u32_u24_e32 v16, 3, v196
	v_fma_f64 v[6:7], s[10:11], v[44:45], v[74:75]
	v_fmac_f64_e32 v[74:75], s[0:1], v[44:45]
	v_add_f64 v[44:45], v[64:65], v[92:93]
	v_fmac_f64_e32 v[64:65], -0.5, v[46:47]
	v_add_f64 v[46:47], v[94:95], -v[98:99]
	v_add_f64 v[48:49], v[94:95], v[98:99]
	v_lshl_add_u32 v16, v16, 4, v35
	v_add_f64 v[0:1], v[0:1], v[100:101]
	v_fma_f64 v[100:101], s[0:1], v[46:47], v[64:65]
	v_fmac_f64_e32 v[64:65], s[10:11], v[46:47]
	v_add_f64 v[46:47], v[66:67], v[94:95]
	v_fmac_f64_e32 v[66:67], -0.5, v[48:49]
	v_add_f64 v[48:49], v[92:93], -v[96:97]
	ds_write_b128 v29, v[84:87] offset:32
	ds_write_b128 v16, v[8:11]
	ds_write_b128 v16, v[12:15] offset:16
	v_mul_u32_u24_e32 v8, 3, v30
	v_add_f64 v[2:3], v[2:3], v[102:103]
	v_fma_f64 v[102:103], s[10:11], v[48:49], v[66:67]
	v_fmac_f64_e32 v[66:67], s[0:1], v[48:49]
	v_add_f64 v[48:49], v[68:69], v[76:77]
	v_lshl_add_u32 v8, v8, 4, v35
	v_fma_f64 v[168:169], -0.5, v[48:49], v[60:61]
	v_add_f64 v[48:49], v[70:71], -v[78:79]
	ds_write_b128 v16, v[80:83] offset:32
	ds_write_b128 v8, v[0:3]
	ds_write_b128 v8, v[4:7] offset:16
	v_mul_u32_u24_e32 v0, 3, v28
	v_add_f64 v[44:45], v[44:45], v[96:97]
	v_add_f64 v[46:47], v[46:47], v[98:99]
	v_fma_f64 v[172:173], s[0:1], v[48:49], v[168:169]
	v_fmac_f64_e32 v[168:169], s[10:11], v[48:49]
	v_add_f64 v[48:49], v[70:71], v[78:79]
	v_lshl_add_u32 v0, v0, 4, v35
	v_fma_f64 v[170:171], -0.5, v[48:49], v[62:63]
	v_add_f64 v[48:49], v[68:69], -v[76:77]
	ds_write_b128 v8, v[72:75] offset:32
	ds_write_b128 v0, v[44:47]
	ds_write_b128 v0, v[100:103] offset:16
	v_accvgpr_write_b32 a63, v0
	ds_write_b128 v0, v[64:67] offset:32
	v_mul_u32_u24_e32 v0, 3, v26
	v_fma_f64 v[174:175], s[10:11], v[48:49], v[170:171]
	v_fmac_f64_e32 v[170:171], s[0:1], v[48:49]
	v_accvgpr_write_b32 a60, v29
	v_accvgpr_write_b32 a61, v16
	;; [unrolled: 1-line block ×4, first 2 shown]
	s_and_saveexec_b64 s[0:1], vcc
	s_cbranch_execz .LBB0_7
; %bb.6:
	v_add_f64 v[0:1], v[62:63], v[70:71]
	v_add_f64 v[2:3], v[0:1], v[78:79]
	v_add_f64 v[0:1], v[60:61], v[68:69]
	v_accvgpr_read_b32 v4, a64
	v_add_f64 v[0:1], v[0:1], v[76:77]
	v_lshl_add_u32 v4, v4, 4, v35
	ds_write_b128 v4, v[0:3]
	ds_write_b128 v4, v[172:175] offset:16
	ds_write_b128 v4, v[168:171] offset:32
.LBB0_7:
	s_or_b64 exec, exec, s[0:1]
	s_movk_i32 s16, 0xab
	v_mul_lo_u16_sdwa v0, v32, s16 dst_sel:DWORD dst_unused:UNUSED_PAD src0_sel:BYTE_0 src1_sel:DWORD
	v_lshrrev_b16_e32 v0, 9, v0
	v_mul_lo_u16_e32 v1, 3, v0
	v_sub_u16_e32 v1, v32, v1
	v_and_b32_e32 v1, 0xff, v1
	s_movk_i32 s0, 0xf0
	v_mov_b64_e32 v[2:3], s[8:9]
	v_mad_u64_u32 v[2:3], s[0:1], v1, s0, v[2:3]
	s_waitcnt lgkmcnt(0)
	; wave barrier
	s_waitcnt lgkmcnt(0)
	global_load_dwordx4 v[72:75], v[2:3], off
	global_load_dwordx4 v[68:71], v[2:3], off offset:16
	global_load_dwordx4 v[64:67], v[2:3], off offset:32
	;; [unrolled: 1-line block ×14, first 2 shown]
	ds_read_b128 v[2:5], v50
	ds_read_b128 v[6:9], v50 offset:432
	ds_read_b128 v[10:13], v50 offset:864
	;; [unrolled: 1-line block ×15, first 2 shown]
	s_mov_b32 s0, 0x667f3bcd
	s_mov_b32 s1, 0xbfe6a09e
	;; [unrolled: 1-line block ×12, first 2 shown]
	v_mul_u32_u24_e32 v0, 48, v0
	v_or_b32_e32 v0, v0, v1
	v_accvgpr_write_b32 a72, v35
	v_lshl_add_u32 v35, v0, 4, v35
	s_waitcnt lgkmcnt(0)
	; wave barrier
	s_waitcnt vmcnt(14) lgkmcnt(0)
	v_mul_f64 v[48:49], v[6:7], v[74:75]
	s_waitcnt vmcnt(13)
	v_mul_f64 v[52:53], v[12:13], v[70:71]
	v_mul_f64 v[22:23], v[8:9], v[74:75]
	;; [unrolled: 1-line block ×3, first 2 shown]
	s_waitcnt vmcnt(12)
	v_mul_f64 v[152:153], v[16:17], v[66:67]
	s_waitcnt vmcnt(10)
	v_mul_f64 v[162:163], v[36:37], v[90:91]
	;; [unrolled: 2-line block ×5, first 2 shown]
	v_fmac_f64_e32 v[48:49], v[8:9], v[72:73]
	v_mul_f64 v[8:9], v[124:125], v[106:107]
	v_fma_f64 v[10:11], v[10:11], v[68:69], -v[52:53]
	s_waitcnt vmcnt(4)
	v_mul_f64 v[52:53], v[134:135], v[98:99]
	v_mul_f64 v[154:155], v[14:15], v[66:67]
	;; [unrolled: 1-line block ×9, first 2 shown]
	v_fma_f64 v[6:7], v[6:7], v[72:73], -v[22:23]
	v_mul_f64 v[22:23], v[130:131], v[102:103]
	v_fmac_f64_e32 v[54:55], v[12:13], v[68:69]
	v_mul_f64 v[12:13], v[128:129], v[102:103]
	v_fma_f64 v[14:15], v[14:15], v[64:65], -v[152:153]
	s_waitcnt vmcnt(3)
	v_mul_f64 v[152:153], v[138:139], v[94:95]
	v_fmac_f64_e32 v[162:163], v[38:39], v[88:89]
	v_fmac_f64_e32 v[166:167], v[42:43], v[84:85]
	v_fma_f64 v[38:39], v[44:45], v[80:81], -v[176:177]
	v_fma_f64 v[42:43], v[124:125], v[104:105], -v[184:185]
	v_fmac_f64_e32 v[8:9], v[126:127], v[104:105]
	v_fma_f64 v[44:45], v[132:133], v[96:97], -v[52:53]
	v_mul_f64 v[52:53], v[136:137], v[94:95]
	s_waitcnt vmcnt(1)
	v_mul_f64 v[124:125], v[146:147], v[114:115]
	v_mul_f64 v[126:127], v[144:145], v[114:115]
	v_fmac_f64_e32 v[154:155], v[16:17], v[64:65]
	v_mul_f64 v[16:17], v[132:133], v[98:99]
	v_fma_f64 v[18:19], v[18:19], v[60:61], -v[156:157]
	v_fmac_f64_e32 v[158:159], v[20:21], v[60:61]
	v_fma_f64 v[20:21], v[36:37], v[88:89], -v[160:161]
	v_fma_f64 v[36:37], v[40:41], v[84:85], -v[164:165]
	v_fmac_f64_e32 v[178:179], v[46:47], v[80:81]
	v_fma_f64 v[40:41], v[120:121], v[76:77], -v[180:181]
	v_fmac_f64_e32 v[182:183], v[122:123], v[76:77]
	;; [unrolled: 2-line block ×4, first 2 shown]
	v_mul_f64 v[122:123], v[140:141], v[118:119]
	v_fma_f64 v[124:125], v[144:145], v[112:113], -v[124:125]
	v_fmac_f64_e32 v[126:127], v[146:147], v[112:113]
	s_waitcnt vmcnt(0)
	v_mul_f64 v[130:131], v[148:149], v[110:111]
	v_fmac_f64_e32 v[16:17], v[134:135], v[96:97]
	v_mul_f64 v[120:121], v[142:143], v[118:119]
	v_fmac_f64_e32 v[122:123], v[142:143], v[116:117]
	;; [unrolled: 2-line block ×3, first 2 shown]
	v_add_f64 v[40:41], v[2:3], -v[40:41]
	v_add_f64 v[132:133], v[4:5], -v[182:183]
	;; [unrolled: 1-line block ×8, first 2 shown]
	v_fma_f64 v[120:121], v[140:141], v[116:117], -v[120:121]
	v_fma_f64 v[128:129], v[148:149], v[108:109], -v[128:129]
	v_fma_f64 v[18:19], v[18:19], 2.0, -v[46:47]
	v_fma_f64 v[134:135], v[158:159], 2.0, -v[52:53]
	;; [unrolled: 1-line block ×4, first 2 shown]
	v_add_f64 v[8:9], v[48:49], -v[8:9]
	v_add_f64 v[122:123], v[162:163], -v[122:123]
	;; [unrolled: 1-line block ×5, first 2 shown]
	v_add_f64 v[46:47], v[132:133], v[46:47]
	v_add_f64 v[126:127], v[22:23], -v[126:127]
	v_add_f64 v[124:125], v[12:13], v[124:125]
	v_fma_f64 v[2:3], v[2:3], 2.0, -v[40:41]
	v_fma_f64 v[4:5], v[4:5], 2.0, -v[132:133]
	;; [unrolled: 1-line block ×4, first 2 shown]
	v_add_f64 v[42:43], v[6:7], -v[42:43]
	v_fma_f64 v[48:49], v[48:49], 2.0, -v[8:9]
	v_add_f64 v[120:121], v[20:21], -v[120:121]
	v_fma_f64 v[138:139], v[162:163], 2.0, -v[122:123]
	;; [unrolled: 2-line block ×4, first 2 shown]
	v_fma_f64 v[40:41], v[40:41], 2.0, -v[52:53]
	v_fma_f64 v[132:133], v[132:133], 2.0, -v[46:47]
	;; [unrolled: 1-line block ×8, first 2 shown]
	v_add_f64 v[134:135], v[4:5], -v[134:135]
	v_add_f64 v[36:37], v[10:11], -v[36:37]
	v_add_f64 v[136:137], v[54:55], -v[136:137]
	v_add_f64 v[138:139], v[48:49], -v[138:139]
	v_add_f64 v[120:121], v[8:9], v[120:121]
	v_add_f64 v[142:143], v[140:141], -v[142:143]
	v_add_f64 v[128:129], v[16:17], v[128:129]
	v_fma_f64 v[148:149], s[0:1], v[22:23], v[40:41]
	v_fma_f64 v[150:151], s[0:1], v[12:13], v[132:133]
	v_add_f64 v[18:19], v[2:3], -v[18:19]
	v_fma_f64 v[4:5], v[4:5], 2.0, -v[134:135]
	v_fma_f64 v[54:55], v[54:55], 2.0, -v[136:137]
	v_add_f64 v[20:21], v[6:7], -v[20:21]
	v_fma_f64 v[48:49], v[48:49], 2.0, -v[138:139]
	v_add_f64 v[122:123], v[42:43], -v[122:123]
	;; [unrolled: 2-line block ×4, first 2 shown]
	v_fma_f64 v[16:17], v[16:17], 2.0, -v[128:129]
	v_fmac_f64_e32 v[148:149], s[0:1], v[12:13]
	v_fmac_f64_e32 v[150:151], s[10:11], v[22:23]
	v_add_f64 v[154:155], v[134:135], v[36:37]
	v_fma_f64 v[158:159], s[10:11], v[124:125], v[46:47]
	v_fma_f64 v[2:3], v[2:3], 2.0, -v[18:19]
	v_fma_f64 v[10:11], v[10:11], 2.0, -v[36:37]
	;; [unrolled: 1-line block ×6, first 2 shown]
	v_add_f64 v[54:55], v[4:5], -v[54:55]
	v_fma_f64 v[22:23], v[40:41], 2.0, -v[148:149]
	v_fma_f64 v[40:41], v[132:133], 2.0, -v[150:151]
	;; [unrolled: 1-line block ×3, first 2 shown]
	v_fma_f64 v[156:157], s[10:11], v[126:127], v[52:53]
	v_fmac_f64_e32 v[158:159], s[10:11], v[126:127]
	v_add_f64 v[126:127], v[48:49], -v[140:141]
	v_fma_f64 v[134:135], s[0:1], v[16:17], v[8:9]
	v_add_f64 v[144:145], v[2:3], -v[10:11]
	v_fma_f64 v[146:147], v[4:5], 2.0, -v[54:55]
	v_fmac_f64_e32 v[156:157], s[0:1], v[124:125]
	v_add_f64 v[124:125], v[6:7], -v[14:15]
	v_fma_f64 v[4:5], v[48:49], 2.0, -v[126:127]
	v_fma_f64 v[48:49], s[0:1], v[44:45], v[42:43]
	v_fmac_f64_e32 v[134:135], s[10:11], v[44:45]
	v_fma_f64 v[10:11], v[2:3], 2.0, -v[144:145]
	v_fma_f64 v[2:3], v[6:7], 2.0, -v[124:125]
	v_fmac_f64_e32 v[48:49], s[0:1], v[16:17]
	v_fma_f64 v[16:17], v[8:9], 2.0, -v[134:135]
	v_fma_f64 v[160:161], s[10:11], v[130:131], v[122:123]
	v_add_f64 v[152:153], v[18:19], -v[136:137]
	v_fma_f64 v[14:15], v[42:43], 2.0, -v[48:49]
	v_add_f64 v[140:141], v[20:21], -v[142:143]
	v_fma_f64 v[162:163], s[10:11], v[128:129], v[120:121]
	v_fmac_f64_e32 v[160:161], s[0:1], v[128:129]
	v_add_f64 v[2:3], v[10:11], -v[2:3]
	v_fma_f64 v[12:13], s[18:19], v[16:17], v[40:41]
	v_fma_f64 v[36:37], v[18:19], 2.0, -v[152:153]
	v_fma_f64 v[52:53], v[52:53], 2.0, -v[156:157]
	v_add_f64 v[142:143], v[138:139], v[38:39]
	v_fma_f64 v[38:39], v[20:21], 2.0, -v[140:141]
	v_fmac_f64_e32 v[162:163], s[10:11], v[130:131]
	v_fma_f64 v[44:45], v[122:123], 2.0, -v[160:161]
	v_fma_f64 v[6:7], v[10:11], 2.0, -v[2:3]
	v_fma_f64 v[10:11], s[18:19], v[14:15], v[22:23]
	v_fmac_f64_e32 v[12:13], s[20:21], v[14:15]
	v_fma_f64 v[46:47], v[46:47], 2.0, -v[158:159]
	v_fma_f64 v[42:43], v[138:139], 2.0, -v[142:143]
	;; [unrolled: 1-line block ×3, first 2 shown]
	v_fmac_f64_e32 v[10:11], s[14:15], v[16:17]
	v_fma_f64 v[16:17], v[40:41], 2.0, -v[12:13]
	v_fma_f64 v[18:19], s[0:1], v[38:39], v[36:37]
	v_fma_f64 v[40:41], s[14:15], v[44:45], v[52:53]
	;; [unrolled: 1-line block ×4, first 2 shown]
	v_add_f64 v[4:5], v[146:147], -v[4:5]
	v_fma_f64 v[20:21], s[0:1], v[42:43], v[132:133]
	v_fmac_f64_e32 v[18:19], s[0:1], v[42:43]
	v_fma_f64 v[42:43], s[14:15], v[120:121], v[46:47]
	v_fmac_f64_e32 v[40:41], s[18:19], v[120:121]
	v_add_f64 v[120:121], v[144:145], -v[126:127]
	v_fma_f64 v[128:129], s[20:21], v[48:49], v[148:149]
	v_fma_f64 v[130:131], s[20:21], v[134:135], v[150:151]
	;; [unrolled: 1-line block ×4, first 2 shown]
	v_fmac_f64_e32 v[220:221], s[14:15], v[162:163]
	v_fmac_f64_e32 v[222:223], s[20:21], v[160:161]
	v_fma_f64 v[8:9], v[146:147], 2.0, -v[4:5]
	v_fma_f64 v[14:15], v[22:23], 2.0, -v[10:11]
	v_fmac_f64_e32 v[20:21], s[10:11], v[38:39]
	v_fmac_f64_e32 v[42:43], s[22:23], v[44:45]
	v_add_f64 v[122:123], v[54:55], v[124:125]
	v_fma_f64 v[124:125], v[144:145], 2.0, -v[120:121]
	v_fmac_f64_e32 v[128:129], s[18:19], v[134:135]
	v_fmac_f64_e32 v[130:131], s[22:23], v[48:49]
	;; [unrolled: 1-line block ×4, first 2 shown]
	v_fma_f64 v[144:145], v[156:157], 2.0, -v[220:221]
	v_fma_f64 v[146:147], v[158:159], 2.0, -v[222:223]
	;; [unrolled: 1-line block ×11, first 2 shown]
	ds_write_b128 v35, v[6:9]
	ds_write_b128 v35, v[14:17] offset:48
	ds_write_b128 v35, v[36:39] offset:96
	;; [unrolled: 1-line block ×15, first 2 shown]
	s_waitcnt lgkmcnt(0)
	; wave barrier
	s_waitcnt lgkmcnt(0)
	ds_read_b128 v[192:195], v50
	ds_read_b128 v[188:191], v50 offset:432
	ds_read_b128 v[8:11], v50 offset:4608
	;; [unrolled: 1-line block ×14, first 2 shown]
	s_and_saveexec_b64 s[0:1], vcc
	s_cbranch_execz .LBB0_9
; %bb.8:
	ds_read_b128 v[220:223], v50 offset:2160
	ds_read_b128 v[172:175], v50 offset:4464
	;; [unrolled: 1-line block ×3, first 2 shown]
.LBB0_9:
	s_or_b64 exec, exec, s[0:1]
	v_lshlrev_b32_e32 v16, 5, v32
	global_load_dwordx4 v[120:123], v16, s[8:9] offset:736
	global_load_dwordx4 v[124:127], v16, s[8:9] offset:720
	s_movk_i32 s0, 0xffeb
	s_mov_b32 s1, -1
	v_mul_lo_u16_sdwa v29, v30, s16 dst_sel:DWORD dst_unused:UNUSED_PAD src0_sel:BYTE_0 src1_sel:DWORD
	v_lshrrev_b16_e32 v29, 13, v29
	v_mul_lo_u16_e32 v31, 48, v29
	v_sub_u16_e32 v31, v30, v31
	v_mov_b32_e32 v49, 5
	v_lshlrev_b32_sdwa v40, v49, v31 dst_sel:DWORD dst_unused:UNUSED_PAD src0_sel:DWORD src1_sel:BYTE_0
	v_mul_lo_u16_sdwa v52, v26, s16 dst_sel:DWORD dst_unused:UNUSED_PAD src0_sel:BYTE_0 src1_sel:DWORD
	v_lshrrev_b16_e32 v52, 13, v52
	v_mul_lo_u16_e32 v52, 48, v52
	v_sub_u16_e32 v52, v26, v52
	v_lshlrev_b32_sdwa v49, v49, v52 dst_sel:DWORD dst_unused:UNUSED_PAD src0_sel:DWORD src1_sel:BYTE_0
	v_accvgpr_write_b32 a65, v52
	s_mov_b32 s11, 0xbfebb67a
	v_mov_b32_e32 v17, 0
	s_waitcnt vmcnt(1) lgkmcnt(12)
	v_mul_f64 v[20:21], v[8:9], v[122:123]
	s_waitcnt vmcnt(0) lgkmcnt(4)
	v_mul_f64 v[18:19], v[14:15], v[126:127]
	v_fma_f64 v[18:19], v[12:13], v[124:125], -v[18:19]
	v_mul_f64 v[12:13], v[12:13], v[126:127]
	v_fmac_f64_e32 v[12:13], v[14:15], v[124:125]
	v_mul_f64 v[14:15], v[10:11], v[122:123]
	v_fma_f64 v[14:15], v[8:9], v[120:121], -v[14:15]
	v_lshl_add_u64 v[8:9], v[32:33], 0, s[0:1]
	v_cmp_gt_u16_e64 s[0:1], 21, v32
	v_fmac_f64_e32 v[20:21], v[10:11], v[120:121]
	s_nop 0
	v_cndmask_b32_e64 v9, v9, v199, s[0:1]
	v_cndmask_b32_e64 v8, v8, v198, s[0:1]
	v_lshlrev_b64 v[10:11], 5, v[8:9]
	v_lshl_add_u64 v[10:11], s[8:9], 0, v[10:11]
	global_load_dwordx4 v[128:131], v[10:11], off offset:736
	global_load_dwordx4 v[132:135], v[10:11], off offset:720
	v_add_u32_e32 v9, 6, v32
	s_mov_b32 s0, 0xe8584caa
	s_mov_b32 s1, 0x3febb67a
	;; [unrolled: 1-line block ×3, first 2 shown]
	s_waitcnt vmcnt(0)
	v_mul_f64 v[10:11], v[6:7], v[134:135]
	v_fma_f64 v[10:11], v[4:5], v[132:133], -v[10:11]
	v_mul_f64 v[4:5], v[4:5], v[134:135]
	v_fmac_f64_e32 v[4:5], v[6:7], v[132:133]
	v_mul_f64 v[6:7], v[2:3], v[130:131]
	v_fma_f64 v[6:7], v[0:1], v[128:129], -v[6:7]
	v_mul_f64 v[0:1], v[0:1], v[130:131]
	v_fmac_f64_e32 v[0:1], v[2:3], v[128:129]
	v_lshlrev_b32_e32 v2, 5, v9
	global_load_dwordx4 v[136:139], v2, s[8:9] offset:736
	global_load_dwordx4 v[140:143], v2, s[8:9] offset:720
	s_waitcnt vmcnt(1)
	v_mul_f64 v[36:37], v[150:151], v[138:139]
	s_waitcnt vmcnt(0)
	v_mul_f64 v[2:3], v[146:147], v[142:143]
	v_mul_f64 v[22:23], v[144:145], v[142:143]
	;; [unrolled: 1-line block ×3, first 2 shown]
	v_fma_f64 v[2:3], v[144:145], v[140:141], -v[2:3]
	v_fmac_f64_e32 v[22:23], v[146:147], v[140:141]
	v_fma_f64 v[36:37], v[148:149], v[136:137], -v[36:37]
	v_fmac_f64_e32 v[38:39], v[150:151], v[136:137]
	global_load_dwordx4 v[144:147], v40, s[8:9] offset:736
	global_load_dwordx4 v[148:151], v40, s[8:9] offset:720
	s_waitcnt vmcnt(1)
	v_mul_f64 v[206:207], v[152:153], v[146:147]
	s_waitcnt vmcnt(0) lgkmcnt(2)
	v_mul_f64 v[40:41], v[158:159], v[150:151]
	v_fma_f64 v[42:43], v[156:157], v[148:149], -v[40:41]
	v_mul_f64 v[40:41], v[154:155], v[146:147]
	v_fma_f64 v[46:47], v[152:153], v[144:145], -v[40:41]
	v_mul_lo_u16_sdwa v40, v28, s16 dst_sel:DWORD dst_unused:UNUSED_PAD src0_sel:BYTE_0 src1_sel:DWORD
	v_lshrrev_b16_e32 v40, 13, v40
	v_mul_lo_u16_e32 v40, 48, v40
	v_sub_u16_e32 v40, v28, v40
	v_and_b32_e32 v48, 0xff, v40
	v_mul_f64 v[44:45], v[156:157], v[150:151]
	v_lshlrev_b32_e32 v40, 5, v48
	v_fmac_f64_e32 v[44:45], v[158:159], v[148:149]
	v_fmac_f64_e32 v[206:207], v[154:155], v[144:145]
	global_load_dwordx4 v[152:155], v40, s[8:9] offset:736
	global_load_dwordx4 v[156:159], v40, s[8:9] offset:720
	s_waitcnt vmcnt(0) lgkmcnt(1)
	v_mul_f64 v[40:41], v[166:167], v[158:159]
	v_fma_f64 v[200:201], v[164:165], v[156:157], -v[40:41]
	s_waitcnt lgkmcnt(0)
	v_mul_f64 v[40:41], v[162:163], v[154:155]
	v_mul_f64 v[202:203], v[164:165], v[158:159]
	v_fma_f64 v[204:205], v[160:161], v[152:153], -v[40:41]
	v_mul_f64 v[40:41], v[160:161], v[154:155]
	v_fmac_f64_e32 v[202:203], v[166:167], v[156:157]
	v_fmac_f64_e32 v[40:41], v[162:163], v[152:153]
	global_load_dwordx4 v[160:163], v49, s[8:9] offset:736
	global_load_dwordx4 v[164:167], v49, s[8:9] offset:720
	s_waitcnt lgkmcnt(0)
	; wave barrier
	s_waitcnt vmcnt(1)
	v_mul_f64 v[228:229], v[168:169], v[162:163]
	s_waitcnt vmcnt(0)
	v_mul_f64 v[52:53], v[174:175], v[166:167]
	v_fma_f64 v[52:53], v[172:173], v[164:165], -v[52:53]
	v_mul_f64 v[54:55], v[172:173], v[166:167]
	v_mul_f64 v[172:173], v[170:171], v[162:163]
	v_fmac_f64_e32 v[228:229], v[170:171], v[160:161]
	v_add_f64 v[170:171], v[18:19], v[14:15]
	v_fma_f64 v[226:227], v[168:169], v[160:161], -v[172:173]
	v_add_f64 v[168:169], v[192:193], v[18:19]
	v_fmac_f64_e32 v[192:193], -0.5, v[170:171]
	v_add_f64 v[170:171], v[12:13], -v[20:21]
	v_fma_f64 v[172:173], s[0:1], v[170:171], v[192:193]
	v_fmac_f64_e32 v[192:193], s[10:11], v[170:171]
	v_add_f64 v[170:171], v[194:195], v[12:13]
	v_add_f64 v[12:13], v[12:13], v[20:21]
	;; [unrolled: 1-line block ×3, first 2 shown]
	v_fmac_f64_e32 v[194:195], -0.5, v[12:13]
	v_add_f64 v[12:13], v[18:19], -v[14:15]
	v_add_f64 v[14:15], v[10:11], v[6:7]
	v_fmac_f64_e32 v[54:55], v[174:175], v[164:165]
	v_fma_f64 v[174:175], s[10:11], v[12:13], v[194:195]
	v_fmac_f64_e32 v[194:195], s[0:1], v[12:13]
	v_add_f64 v[12:13], v[188:189], v[10:11]
	v_fmac_f64_e32 v[188:189], -0.5, v[14:15]
	v_add_f64 v[14:15], v[4:5], -v[0:1]
	v_fma_f64 v[18:19], s[0:1], v[14:15], v[188:189]
	v_fmac_f64_e32 v[188:189], s[10:11], v[14:15]
	v_add_f64 v[14:15], v[190:191], v[4:5]
	v_add_f64 v[14:15], v[14:15], v[0:1]
	;; [unrolled: 1-line block ×3, first 2 shown]
	v_fmac_f64_e32 v[190:191], -0.5, v[0:1]
	v_add_f64 v[0:1], v[10:11], -v[6:7]
	v_add_f64 v[170:171], v[170:171], v[20:21]
	v_fma_f64 v[20:21], s[10:11], v[0:1], v[190:191]
	v_fmac_f64_e32 v[190:191], s[0:1], v[0:1]
	v_add_f64 v[0:1], v[184:185], v[2:3]
	v_add_f64 v[4:5], v[0:1], v[36:37]
	;; [unrolled: 1-line block ×4, first 2 shown]
	v_fmac_f64_e32 v[184:185], -0.5, v[0:1]
	v_add_f64 v[6:7], v[22:23], -v[38:39]
	v_add_f64 v[10:11], v[22:23], v[38:39]
	v_fma_f64 v[0:1], s[0:1], v[6:7], v[184:185]
	v_fmac_f64_e32 v[184:185], s[10:11], v[6:7]
	v_add_f64 v[6:7], v[186:187], v[22:23]
	v_fmac_f64_e32 v[186:187], -0.5, v[10:11]
	v_add_f64 v[10:11], v[2:3], -v[36:37]
	v_fma_f64 v[2:3], s[10:11], v[10:11], v[186:187]
	v_fmac_f64_e32 v[186:187], s[0:1], v[10:11]
	v_add_f64 v[10:11], v[180:181], v[42:43]
	v_add_f64 v[36:37], v[10:11], v[46:47]
	;; [unrolled: 1-line block ×3, first 2 shown]
	v_fmac_f64_e32 v[180:181], -0.5, v[10:11]
	v_add_f64 v[10:11], v[44:45], -v[206:207]
	v_fma_f64 v[208:209], s[0:1], v[10:11], v[180:181]
	v_fmac_f64_e32 v[180:181], s[10:11], v[10:11]
	v_add_f64 v[10:11], v[182:183], v[44:45]
	v_add_f64 v[6:7], v[6:7], v[38:39]
	v_add_f64 v[38:39], v[10:11], v[206:207]
	v_add_f64 v[10:11], v[44:45], v[206:207]
	v_fmac_f64_e32 v[182:183], -0.5, v[10:11]
	v_add_f64 v[10:11], v[42:43], -v[46:47]
	v_fma_f64 v[210:211], s[10:11], v[10:11], v[182:183]
	v_fmac_f64_e32 v[182:183], s[0:1], v[10:11]
	v_add_f64 v[10:11], v[176:177], v[200:201]
	v_add_f64 v[42:43], v[10:11], v[204:205]
	v_add_f64 v[10:11], v[200:201], v[204:205]
	v_fmac_f64_e32 v[176:177], -0.5, v[10:11]
	v_add_f64 v[10:11], v[202:203], -v[40:41]
	v_fma_f64 v[212:213], s[0:1], v[10:11], v[176:177]
	v_fmac_f64_e32 v[176:177], s[10:11], v[10:11]
	v_add_f64 v[10:11], v[178:179], v[202:203]
	v_add_f64 v[44:45], v[10:11], v[40:41]
	v_add_f64 v[10:11], v[202:203], v[40:41]
	;; [unrolled: 7-line block ×4, first 2 shown]
	v_fmac_f64_e32 v[222:223], -0.5, v[10:11]
	v_add_f64 v[10:11], v[52:53], -v[226:227]
	v_fma_f64 v[226:227], s[10:11], v[10:11], v[222:223]
	v_fmac_f64_e32 v[222:223], s[0:1], v[10:11]
	v_cmp_lt_u16_e64 s[0:1], 20, v32
	v_mov_b32_e32 v10, 0x90
	ds_write_b128 v50, v[168:171]
	ds_write_b128 v50, v[172:175] offset:768
	ds_write_b128 v50, v[192:195] offset:1536
	v_cndmask_b32_e64 v10, 0, v10, s[0:1]
	v_add_u32_e32 v8, v8, v10
	v_accvgpr_read_b32 v10, a72
	v_lshl_add_u32 v8, v8, 4, v10
	ds_write_b128 v8, v[12:15]
	ds_write_b128 v8, v[18:21] offset:768
	ds_write_b128 v8, v[188:191] offset:1536
	;; [unrolled: 1-line block ×3, first 2 shown]
	v_lshl_add_u32 v4, v9, 4, v10
	ds_write_b128 v4, v[0:3] offset:3072
	ds_write_b128 v50, v[184:187] offset:3936
	v_mul_u32_u24_e32 v0, 0x90, v29
	v_add_u32_sdwa v0, v0, v31 dst_sel:DWORD dst_unused:UNUSED_PAD src0_sel:DWORD src1_sel:BYTE_0
	v_lshl_add_u32 v0, v0, 4, v10
	ds_write_b128 v0, v[36:39]
	ds_write_b128 v0, v[208:211] offset:768
	v_accvgpr_write_b32 a68, v0
	ds_write_b128 v0, v[180:183] offset:1536
	v_lshl_add_u32 v0, v48, 4, v10
	v_accvgpr_write_b32 a67, v8
	v_accvgpr_write_b32 a70, v4
	;; [unrolled: 1-line block ×3, first 2 shown]
	ds_write_b128 v0, v[42:45] offset:4608
	ds_write_b128 v0, v[212:215] offset:5376
	;; [unrolled: 1-line block ×3, first 2 shown]
	s_and_saveexec_b64 s[0:1], vcc
	s_cbranch_execz .LBB0_11
; %bb.10:
	v_accvgpr_read_b32 v0, a65
	v_and_b32_e32 v0, 0xff, v0
	v_accvgpr_read_b32 v1, a72
	v_lshl_add_u32 v0, v0, 4, v1
	ds_write_b128 v0, v[216:219] offset:4608
	ds_write_b128 v0, v[224:227] offset:5376
	;; [unrolled: 1-line block ×3, first 2 shown]
.LBB0_11:
	s_or_b64 exec, exec, s[0:1]
	s_waitcnt lgkmcnt(0)
	; wave barrier
	s_waitcnt lgkmcnt(0)
	ds_read_b128 v[244:247], v50
	ds_read_b128 v[12:15], v50 offset:2304
	ds_read_b128 v[8:11], v50 offset:4608
	;; [unrolled: 1-line block ×14, first 2 shown]
	v_lshl_add_u64 v[16:17], s[8:9], 0, v[16:17]
	s_and_saveexec_b64 s[0:1], vcc
	s_cbranch_execz .LBB0_13
; %bb.12:
	ds_read_b128 v[216:219], v50 offset:2160
	ds_read_b128 v[224:227], v50 offset:4464
	;; [unrolled: 1-line block ×3, first 2 shown]
.LBB0_13:
	s_or_b64 exec, exec, s[0:1]
	global_load_dwordx4 v[168:171], v[16:17], off offset:2272
	global_load_dwordx4 v[176:179], v[16:17], off offset:2256
	v_lshl_add_u32 v51, v25, 4, v24
	v_lshlrev_b32_e32 v24, 5, v30
	v_lshlrev_b32_e32 v28, 5, v28
	v_lshl_add_u64 v[46:47], v[32:33], 0, -9
	v_cndmask_b32_e32 v27, v47, v27, vcc
	v_cndmask_b32_e32 v26, v46, v26, vcc
	v_lshlrev_b64 v[26:27], 5, v[26:27]
	v_lshl_add_u64 v[26:27], s[8:9], 0, v[26:27]
	s_mov_b32 s0, 0xe8584caa
	s_mov_b32 s1, 0x3febb67a
	v_accvgpr_write_b32 a71, v51
	s_waitcnt vmcnt(0) lgkmcnt(13)
	v_mul_f64 v[16:17], v[14:15], v[178:179]
	v_fma_f64 v[16:17], v[12:13], v[176:177], -v[16:17]
	v_mul_f64 v[18:19], v[12:13], v[178:179]
	s_waitcnt lgkmcnt(12)
	v_mul_f64 v[12:13], v[10:11], v[170:171]
	v_fmac_f64_e32 v[18:19], v[14:15], v[176:177]
	v_fma_f64 v[12:13], v[8:9], v[168:169], -v[12:13]
	v_mul_f64 v[14:15], v[8:9], v[170:171]
	v_lshlrev_b32_e32 v8, 5, v198
	global_load_dwordx4 v[184:187], v8, s[8:9] offset:2272
	global_load_dwordx4 v[188:191], v8, s[8:9] offset:2256
	v_fmac_f64_e32 v[14:15], v[10:11], v[168:169]
	v_add_f64 v[52:53], v[244:245], v[16:17]
	v_add_f64 v[248:249], v[52:53], v[12:13]
	;; [unrolled: 1-line block ×3, first 2 shown]
	v_fmac_f64_e32 v[244:245], -0.5, v[52:53]
	v_add_f64 v[52:53], v[18:19], -v[14:15]
	v_fma_f64 v[252:253], s[0:1], v[52:53], v[244:245]
	v_add_f64 v[12:13], v[16:17], -v[12:13]
	s_waitcnt vmcnt(0) lgkmcnt(10)
	v_mul_f64 v[8:9], v[2:3], v[190:191]
	v_fma_f64 v[8:9], v[0:1], v[188:189], -v[8:9]
	v_mul_f64 v[0:1], v[0:1], v[190:191]
	v_fmac_f64_e32 v[0:1], v[2:3], v[188:189]
	s_waitcnt lgkmcnt(9)
	v_mul_f64 v[2:3], v[6:7], v[186:187]
	v_fma_f64 v[2:3], v[4:5], v[184:185], -v[2:3]
	v_mul_f64 v[4:5], v[4:5], v[186:187]
	v_fmac_f64_e32 v[4:5], v[6:7], v[184:185]
	v_lshlrev_b32_e32 v6, 5, v196
	global_load_dwordx4 v[192:195], v6, s[8:9] offset:2272
	global_load_dwordx4 v[196:199], v6, s[8:9] offset:2256
	s_waitcnt vmcnt(1) lgkmcnt(6)
	v_mul_f64 v[20:21], v[202:203], v[194:195]
	s_waitcnt vmcnt(0)
	v_mul_f64 v[6:7], v[206:207], v[198:199]
	v_mul_f64 v[10:11], v[204:205], v[198:199]
	;; [unrolled: 1-line block ×3, first 2 shown]
	v_fma_f64 v[6:7], v[204:205], v[196:197], -v[6:7]
	v_fmac_f64_e32 v[10:11], v[206:207], v[196:197]
	v_fma_f64 v[20:21], v[200:201], v[192:193], -v[20:21]
	v_fmac_f64_e32 v[22:23], v[202:203], v[192:193]
	global_load_dwordx4 v[200:203], v24, s[8:9] offset:2272
	global_load_dwordx4 v[204:207], v24, s[8:9] offset:2256
	s_waitcnt vmcnt(1) lgkmcnt(3)
	v_mul_f64 v[36:37], v[214:215], v[202:203]
	s_waitcnt vmcnt(0)
	v_mul_f64 v[24:25], v[210:211], v[206:207]
	v_mul_f64 v[30:31], v[208:209], v[206:207]
	v_mul_f64 v[38:39], v[212:213], v[202:203]
	v_fma_f64 v[24:25], v[208:209], v[204:205], -v[24:25]
	v_fmac_f64_e32 v[30:31], v[210:211], v[204:205]
	v_fma_f64 v[36:37], v[212:213], v[200:201], -v[36:37]
	v_fmac_f64_e32 v[38:39], v[214:215], v[200:201]
	global_load_dwordx4 v[208:211], v28, s[8:9] offset:2272
	global_load_dwordx4 v[212:215], v28, s[8:9] offset:2256
	s_mov_b32 s9, 0xbfebb67a
	s_mov_b32 s8, s0
	v_fmac_f64_e32 v[244:245], s[8:9], v[52:53]
	v_add_f64 v[52:53], v[246:247], v[18:19]
	v_add_f64 v[250:251], v[52:53], v[14:15]
	;; [unrolled: 1-line block ×3, first 2 shown]
	v_fmac_f64_e32 v[246:247], -0.5, v[14:15]
	v_add_f64 v[14:15], v[8:9], v[2:3]
	v_fma_f64 v[254:255], s[8:9], v[12:13], v[246:247]
	v_fmac_f64_e32 v[246:247], s[0:1], v[12:13]
	v_add_f64 v[12:13], v[240:241], v[8:9]
	v_fmac_f64_e32 v[240:241], -0.5, v[14:15]
	v_add_f64 v[14:15], v[0:1], -v[4:5]
	v_fma_f64 v[16:17], s[0:1], v[14:15], v[240:241]
	v_fmac_f64_e32 v[240:241], s[8:9], v[14:15]
	v_add_f64 v[14:15], v[242:243], v[0:1]
	v_add_f64 v[0:1], v[0:1], v[4:5]
	;; [unrolled: 1-line block ×3, first 2 shown]
	v_fmac_f64_e32 v[242:243], -0.5, v[0:1]
	v_add_f64 v[0:1], v[8:9], -v[2:3]
	v_add_f64 v[2:3], v[6:7], v[20:21]
	v_fma_f64 v[18:19], s[8:9], v[0:1], v[242:243]
	v_fmac_f64_e32 v[242:243], s[0:1], v[0:1]
	v_add_f64 v[0:1], v[236:237], v[6:7]
	v_fmac_f64_e32 v[236:237], -0.5, v[2:3]
	v_add_f64 v[2:3], v[10:11], -v[22:23]
	v_add_f64 v[8:9], v[10:11], v[22:23]
	v_add_f64 v[14:15], v[14:15], v[4:5]
	v_fma_f64 v[4:5], s[0:1], v[2:3], v[236:237]
	v_fmac_f64_e32 v[236:237], s[8:9], v[2:3]
	v_add_f64 v[2:3], v[238:239], v[10:11]
	v_fmac_f64_e32 v[238:239], -0.5, v[8:9]
	v_add_f64 v[8:9], v[6:7], -v[20:21]
	v_add_f64 v[10:11], v[24:25], v[36:37]
	;; [unrolled: 7-line block ×3, first 2 shown]
	v_add_f64 v[0:1], v[0:1], v[20:21]
	v_fma_f64 v[20:21], s[0:1], v[10:11], v[232:233]
	v_fmac_f64_e32 v[232:233], s[8:9], v[10:11]
	v_add_f64 v[10:11], v[234:235], v[30:31]
	v_fmac_f64_e32 v[234:235], -0.5, v[22:23]
	v_add_f64 v[24:25], v[24:25], -v[36:37]
	v_fma_f64 v[22:23], s[8:9], v[24:25], v[234:235]
	v_fmac_f64_e32 v[234:235], s[0:1], v[24:25]
	v_add_f64 v[8:9], v[8:9], v[36:37]
	v_add_f64 v[10:11], v[10:11], v[38:39]
	s_waitcnt vmcnt(1) lgkmcnt(0)
	v_mul_f64 v[42:43], v[174:175], v[210:211]
	s_waitcnt vmcnt(0)
	v_mul_f64 v[28:29], v[182:183], v[214:215]
	v_mul_f64 v[40:41], v[180:181], v[214:215]
	;; [unrolled: 1-line block ×3, first 2 shown]
	v_fma_f64 v[28:29], v[180:181], v[212:213], -v[28:29]
	v_fmac_f64_e32 v[40:41], v[182:183], v[212:213]
	v_fma_f64 v[42:43], v[172:173], v[208:209], -v[42:43]
	v_fmac_f64_e32 v[44:45], v[174:175], v[208:209]
	global_load_dwordx4 v[172:175], v[26:27], off offset:2272
	global_load_dwordx4 v[180:183], v[26:27], off offset:2256
	v_add_f64 v[24:25], v[228:229], v[28:29]
	v_add_f64 v[36:37], v[24:25], v[42:43]
	;; [unrolled: 1-line block ×3, first 2 shown]
	v_fmac_f64_e32 v[228:229], -0.5, v[24:25]
	v_add_f64 v[24:25], v[40:41], -v[44:45]
	v_fma_f64 v[52:53], s[0:1], v[24:25], v[228:229]
	v_fmac_f64_e32 v[228:229], s[8:9], v[24:25]
	v_add_f64 v[24:25], v[230:231], v[40:41]
	v_add_f64 v[38:39], v[24:25], v[44:45]
	v_add_f64 v[24:25], v[40:41], v[44:45]
	v_fmac_f64_e32 v[230:231], -0.5, v[24:25]
	v_add_f64 v[24:25], v[28:29], -v[42:43]
	v_fma_f64 v[54:55], s[8:9], v[24:25], v[230:231]
	v_fmac_f64_e32 v[230:231], s[0:1], v[24:25]
	ds_write_b128 v50, v[248:251]
	ds_write_b128 v50, v[252:255] offset:2304
	ds_write_b128 v50, v[244:247] offset:4608
	ds_write_b128 v50, v[12:15] offset:432
	ds_write_b128 v50, v[16:19] offset:2736
	ds_write_b128 v50, v[240:243] offset:5040
	ds_write_b128 v50, v[0:3] offset:864
	ds_write_b128 v50, v[4:7] offset:3168
	ds_write_b128 v50, v[236:239] offset:5472
	ds_write_b128 v50, v[8:11] offset:1296
	ds_write_b128 v50, v[20:23] offset:3600
	ds_write_b128 v50, v[232:235] offset:5904
	ds_write_b128 v50, v[36:39] offset:1728
	ds_write_b128 v51, v[52:55] offset:4032
	ds_write_b128 v51, v[228:231] offset:6336
	s_waitcnt vmcnt(1)
	v_mul_f64 v[48:49], v[222:223], v[174:175]
	s_waitcnt vmcnt(0)
	v_mul_f64 v[26:27], v[226:227], v[182:183]
	v_fma_f64 v[26:27], v[224:225], v[180:181], -v[26:27]
	v_mul_f64 v[46:47], v[224:225], v[182:183]
	v_fmac_f64_e32 v[46:47], v[226:227], v[180:181]
	v_fma_f64 v[226:227], v[220:221], v[172:173], -v[48:49]
	v_mul_f64 v[48:49], v[220:221], v[174:175]
	v_add_f64 v[24:25], v[216:217], v[26:27]
	v_fmac_f64_e32 v[48:49], v[222:223], v[172:173]
	v_add_f64 v[220:221], v[24:25], v[226:227]
	v_add_f64 v[24:25], v[26:27], v[226:227]
	v_fmac_f64_e32 v[216:217], -0.5, v[24:25]
	v_add_f64 v[24:25], v[46:47], -v[48:49]
	v_fma_f64 v[224:225], s[0:1], v[24:25], v[216:217]
	v_fmac_f64_e32 v[216:217], s[8:9], v[24:25]
	v_add_f64 v[24:25], v[218:219], v[46:47]
	v_add_f64 v[222:223], v[24:25], v[48:49]
	;; [unrolled: 1-line block ×3, first 2 shown]
	v_fmac_f64_e32 v[218:219], -0.5, v[24:25]
	v_add_f64 v[24:25], v[26:27], -v[226:227]
	v_fma_f64 v[226:227], s[8:9], v[24:25], v[218:219]
	v_fmac_f64_e32 v[218:219], s[0:1], v[24:25]
	s_and_saveexec_b64 s[0:1], vcc
	s_cbranch_execz .LBB0_15
; %bb.14:
	ds_write_b128 v50, v[220:223] offset:2160
	ds_write_b128 v50, v[224:227] offset:4464
	;; [unrolled: 1-line block ×3, first 2 shown]
.LBB0_15:
	s_or_b64 exec, exec, s[0:1]
	s_add_u32 s8, s12, 0x1b00
	s_addc_u32 s9, s13, 0
	v_lshlrev_b32_e32 v4, 4, v32
	s_waitcnt lgkmcnt(0)
	; wave barrier
	s_waitcnt lgkmcnt(0)
	global_load_dwordx4 v[10:13], v4, s[8:9]
	ds_read_b128 v[6:9], v50
	ds_read_b128 v[228:231], v50 offset:6336
	v_mov_b32_e32 v5, 0
	v_lshl_add_u64 v[0:1], s[8:9], 0, v[4:5]
	s_movk_i32 s0, 0x1000
	s_waitcnt vmcnt(0) lgkmcnt(1)
	v_mul_f64 v[2:3], v[8:9], v[12:13]
	v_mul_f64 v[16:17], v[6:7], v[12:13]
	v_fma_f64 v[14:15], v[6:7], v[10:11], -v[2:3]
	v_fmac_f64_e32 v[16:17], v[8:9], v[10:11]
	global_load_dwordx4 v[10:13], v4, s[8:9] offset:2304
	ds_read_b128 v[6:9], v50 offset:2304
	ds_write_b128 v50, v[14:17]
	s_waitcnt vmcnt(0) lgkmcnt(1)
	v_mul_f64 v[2:3], v[8:9], v[12:13]
	v_fma_f64 v[14:15], v[6:7], v[10:11], -v[2:3]
	v_mul_f64 v[16:17], v[6:7], v[12:13]
	v_accvgpr_read_b32 v2, a66
	v_fmac_f64_e32 v[16:17], v[8:9], v[10:11]
	global_load_dwordx4 v[10:13], v2, s[8:9]
	ds_read_b128 v[6:9], v50 offset:4608
	ds_write_b128 v50, v[14:17] offset:2304
	s_waitcnt vmcnt(0) lgkmcnt(1)
	v_mul_f64 v[2:3], v[8:9], v[12:13]
	v_mul_f64 v[16:17], v[6:7], v[12:13]
	v_fma_f64 v[14:15], v[6:7], v[10:11], -v[2:3]
	v_fmac_f64_e32 v[16:17], v[8:9], v[10:11]
	global_load_dwordx4 v[10:13], v4, s[8:9] offset:432
	ds_read_b128 v[6:9], v50 offset:432
	ds_write_b128 v50, v[14:17] offset:4608
	s_waitcnt vmcnt(0) lgkmcnt(1)
	v_mul_f64 v[2:3], v[8:9], v[12:13]
	v_mul_f64 v[16:17], v[6:7], v[12:13]
	v_fma_f64 v[14:15], v[6:7], v[10:11], -v[2:3]
	v_fmac_f64_e32 v[16:17], v[8:9], v[10:11]
	global_load_dwordx4 v[10:13], v4, s[8:9] offset:2736
	ds_read_b128 v[6:9], v50 offset:2736
	ds_write_b128 v50, v[14:17] offset:432
	s_waitcnt vmcnt(0) lgkmcnt(1)
	v_mul_f64 v[2:3], v[8:9], v[12:13]
	v_fma_f64 v[14:15], v[6:7], v[10:11], -v[2:3]
	v_add_co_u32_e64 v2, s[0:1], s0, v0
	v_mul_f64 v[16:17], v[6:7], v[12:13]
	s_nop 0
	v_addc_co_u32_e64 v3, s[0:1], 0, v1, s[0:1]
	v_fmac_f64_e32 v[16:17], v[8:9], v[10:11]
	global_load_dwordx4 v[10:13], v[2:3], off offset:944
	ds_read_b128 v[6:9], v50 offset:5040
	ds_write_b128 v50, v[14:17] offset:2736
	s_waitcnt vmcnt(0) lgkmcnt(1)
	v_mul_f64 v[14:15], v[8:9], v[12:13]
	v_mul_f64 v[16:17], v[6:7], v[12:13]
	v_fma_f64 v[14:15], v[6:7], v[10:11], -v[14:15]
	v_fmac_f64_e32 v[16:17], v[8:9], v[10:11]
	global_load_dwordx4 v[10:13], v4, s[8:9] offset:864
	ds_read_b128 v[6:9], v50 offset:864
	ds_write_b128 v50, v[14:17] offset:5040
	s_waitcnt vmcnt(0) lgkmcnt(1)
	v_mul_f64 v[14:15], v[8:9], v[12:13]
	v_mul_f64 v[16:17], v[6:7], v[12:13]
	v_fma_f64 v[14:15], v[6:7], v[10:11], -v[14:15]
	v_fmac_f64_e32 v[16:17], v[8:9], v[10:11]
	global_load_dwordx4 v[10:13], v4, s[8:9] offset:3168
	ds_read_b128 v[6:9], v50 offset:3168
	ds_write_b128 v50, v[14:17] offset:864
	s_waitcnt vmcnt(0) lgkmcnt(1)
	v_mul_f64 v[14:15], v[8:9], v[12:13]
	v_mul_f64 v[16:17], v[6:7], v[12:13]
	v_fma_f64 v[14:15], v[6:7], v[10:11], -v[14:15]
	v_fmac_f64_e32 v[16:17], v[8:9], v[10:11]
	global_load_dwordx4 v[10:13], v[2:3], off offset:1376
	ds_read_b128 v[6:9], v50 offset:5472
	ds_write_b128 v50, v[14:17] offset:3168
	s_waitcnt vmcnt(0) lgkmcnt(1)
	v_mul_f64 v[14:15], v[8:9], v[12:13]
	v_mul_f64 v[16:17], v[6:7], v[12:13]
	v_fma_f64 v[14:15], v[6:7], v[10:11], -v[14:15]
	v_fmac_f64_e32 v[16:17], v[8:9], v[10:11]
	global_load_dwordx4 v[10:13], v4, s[8:9] offset:1296
	ds_read_b128 v[6:9], v50 offset:1296
	ds_write_b128 v50, v[14:17] offset:5472
	s_waitcnt vmcnt(0) lgkmcnt(1)
	v_mul_f64 v[14:15], v[8:9], v[12:13]
	v_mul_f64 v[16:17], v[6:7], v[12:13]
	v_fma_f64 v[14:15], v[6:7], v[10:11], -v[14:15]
	v_fmac_f64_e32 v[16:17], v[8:9], v[10:11]
	global_load_dwordx4 v[10:13], v4, s[8:9] offset:3600
	ds_read_b128 v[6:9], v50 offset:3600
	ds_write_b128 v50, v[14:17] offset:1296
	s_waitcnt vmcnt(0) lgkmcnt(1)
	v_mul_f64 v[14:15], v[8:9], v[12:13]
	v_mul_f64 v[16:17], v[6:7], v[12:13]
	v_fma_f64 v[14:15], v[6:7], v[10:11], -v[14:15]
	v_fmac_f64_e32 v[16:17], v[8:9], v[10:11]
	global_load_dwordx4 v[10:13], v[2:3], off offset:1808
	ds_read_b128 v[6:9], v50 offset:5904
	ds_write_b128 v50, v[14:17] offset:3600
	s_waitcnt vmcnt(0) lgkmcnt(1)
	v_mul_f64 v[14:15], v[8:9], v[12:13]
	v_mul_f64 v[16:17], v[6:7], v[12:13]
	v_fma_f64 v[14:15], v[6:7], v[10:11], -v[14:15]
	v_fmac_f64_e32 v[16:17], v[8:9], v[10:11]
	global_load_dwordx4 v[10:13], v4, s[8:9] offset:1728
	ds_read_b128 v[6:9], v50 offset:1728
	ds_write_b128 v50, v[14:17] offset:5904
	s_waitcnt vmcnt(0) lgkmcnt(1)
	v_mul_f64 v[14:15], v[8:9], v[12:13]
	v_mul_f64 v[16:17], v[6:7], v[12:13]
	v_fma_f64 v[14:15], v[6:7], v[10:11], -v[14:15]
	v_fmac_f64_e32 v[16:17], v[8:9], v[10:11]
	global_load_dwordx4 v[10:13], v4, s[8:9] offset:4032
	ds_read_b128 v[6:9], v50 offset:4032
	ds_write_b128 v50, v[14:17] offset:1728
	s_waitcnt vmcnt(0) lgkmcnt(1)
	v_mul_f64 v[4:5], v[8:9], v[12:13]
	v_fma_f64 v[4:5], v[6:7], v[10:11], -v[4:5]
	v_mul_f64 v[6:7], v[6:7], v[12:13]
	v_fmac_f64_e32 v[6:7], v[8:9], v[10:11]
	ds_write_b128 v50, v[4:7] offset:4032
	global_load_dwordx4 v[4:7], v[2:3], off offset:2240
	s_waitcnt vmcnt(0)
	v_mul_f64 v[8:9], v[230:231], v[6:7]
	v_mul_f64 v[10:11], v[228:229], v[6:7]
	v_fma_f64 v[8:9], v[228:229], v[4:5], -v[8:9]
	v_fmac_f64_e32 v[10:11], v[230:231], v[4:5]
	ds_write_b128 v50, v[8:11] offset:6336
	s_and_saveexec_b64 s[0:1], vcc
	s_cbranch_execz .LBB0_17
; %bb.16:
	global_load_dwordx4 v[8:11], v[0:1], off offset:2160
	ds_read_b128 v[4:7], v50 offset:2160
	s_waitcnt vmcnt(0) lgkmcnt(0)
	v_mul_f64 v[0:1], v[6:7], v[10:11]
	v_mul_f64 v[14:15], v[4:5], v[10:11]
	v_fma_f64 v[12:13], v[4:5], v[8:9], -v[0:1]
	v_fmac_f64_e32 v[14:15], v[6:7], v[8:9]
	global_load_dwordx4 v[8:11], v[2:3], off offset:368
	ds_read_b128 v[4:7], v50 offset:4464
	ds_write_b128 v50, v[12:15] offset:2160
	s_waitcnt vmcnt(0) lgkmcnt(1)
	v_mul_f64 v[0:1], v[6:7], v[10:11]
	v_fma_f64 v[12:13], v[4:5], v[8:9], -v[0:1]
	global_load_dwordx4 v[0:3], v[2:3], off offset:2672
	v_mul_f64 v[14:15], v[4:5], v[10:11]
	v_fmac_f64_e32 v[14:15], v[6:7], v[8:9]
	ds_read_b128 v[4:7], v50 offset:6768
	ds_write_b128 v50, v[12:15] offset:4464
	s_waitcnt vmcnt(0) lgkmcnt(1)
	v_mul_f64 v[8:9], v[6:7], v[2:3]
	v_mul_f64 v[10:11], v[4:5], v[2:3]
	v_fma_f64 v[8:9], v[4:5], v[0:1], -v[8:9]
	v_fmac_f64_e32 v[10:11], v[6:7], v[0:1]
	ds_write_b128 v50, v[8:11] offset:6768
.LBB0_17:
	s_or_b64 exec, exec, s[0:1]
	s_waitcnt lgkmcnt(0)
	; wave barrier
	s_waitcnt lgkmcnt(0)
	ds_read_b128 v[252:255], v50
	ds_read_b128 v[248:251], v50 offset:432
	ds_read_b128 v[24:27], v50 offset:4608
	;; [unrolled: 1-line block ×14, first 2 shown]
	s_and_saveexec_b64 s[0:1], vcc
	s_cbranch_execz .LBB0_19
; %bb.18:
	ds_read_b128 v[220:223], v50 offset:2160
	ds_read_b128 v[224:227], v50 offset:4464
	;; [unrolled: 1-line block ×3, first 2 shown]
.LBB0_19:
	s_or_b64 exec, exec, s[0:1]
	s_waitcnt lgkmcnt(4)
	v_add_f64 v[38:39], v[28:29], v[24:25]
	s_mov_b32 s0, 0xe8584caa
	v_add_f64 v[36:37], v[252:253], v[28:29]
	v_fmac_f64_e32 v[252:253], -0.5, v[38:39]
	v_add_f64 v[38:39], v[30:31], -v[26:27]
	s_mov_b32 s1, 0xbfebb67a
	s_mov_b32 s9, 0x3febb67a
	;; [unrolled: 1-line block ×3, first 2 shown]
	v_fma_f64 v[40:41], s[0:1], v[38:39], v[252:253]
	v_fmac_f64_e32 v[252:253], s[8:9], v[38:39]
	v_add_f64 v[38:39], v[254:255], v[30:31]
	v_add_f64 v[38:39], v[38:39], v[26:27]
	;; [unrolled: 1-line block ×4, first 2 shown]
	v_fmac_f64_e32 v[254:255], -0.5, v[26:27]
	v_add_f64 v[24:25], v[28:29], -v[24:25]
	v_add_f64 v[26:27], v[20:21], v[16:17]
	v_fma_f64 v[42:43], s[8:9], v[24:25], v[254:255]
	v_fmac_f64_e32 v[254:255], s[0:1], v[24:25]
	v_add_f64 v[24:25], v[248:249], v[20:21]
	v_fmac_f64_e32 v[248:249], -0.5, v[26:27]
	v_add_f64 v[26:27], v[22:23], -v[18:19]
	v_fma_f64 v[28:29], s[0:1], v[26:27], v[248:249]
	v_fmac_f64_e32 v[248:249], s[8:9], v[26:27]
	v_add_f64 v[26:27], v[250:251], v[22:23]
	v_add_f64 v[26:27], v[26:27], v[18:19]
	;; [unrolled: 1-line block ×4, first 2 shown]
	v_fmac_f64_e32 v[250:251], -0.5, v[18:19]
	v_add_f64 v[16:17], v[20:21], -v[16:17]
	v_add_f64 v[18:19], v[8:9], v[12:13]
	v_fma_f64 v[30:31], s[8:9], v[16:17], v[250:251]
	v_fmac_f64_e32 v[250:251], s[0:1], v[16:17]
	v_add_f64 v[16:17], v[244:245], v[8:9]
	v_fmac_f64_e32 v[244:245], -0.5, v[18:19]
	v_add_f64 v[18:19], v[10:11], -v[14:15]
	v_fma_f64 v[20:21], s[0:1], v[18:19], v[244:245]
	v_fmac_f64_e32 v[244:245], s[8:9], v[18:19]
	v_add_f64 v[18:19], v[246:247], v[10:11]
	v_add_f64 v[10:11], v[10:11], v[14:15]
	v_fmac_f64_e32 v[246:247], -0.5, v[10:11]
	v_add_f64 v[8:9], v[8:9], -v[12:13]
	s_waitcnt lgkmcnt(2)
	v_add_f64 v[10:11], v[4:5], v[0:1]
	v_fma_f64 v[22:23], s[8:9], v[8:9], v[246:247]
	v_fmac_f64_e32 v[246:247], s[0:1], v[8:9]
	v_add_f64 v[8:9], v[240:241], v[4:5]
	v_fmac_f64_e32 v[240:241], -0.5, v[10:11]
	v_add_f64 v[10:11], v[6:7], -v[2:3]
	v_add_f64 v[16:17], v[16:17], v[12:13]
	v_fma_f64 v[12:13], s[0:1], v[10:11], v[240:241]
	v_fmac_f64_e32 v[240:241], s[8:9], v[10:11]
	v_add_f64 v[10:11], v[242:243], v[6:7]
	v_add_f64 v[10:11], v[10:11], v[2:3]
	;; [unrolled: 1-line block ×4, first 2 shown]
	v_fmac_f64_e32 v[242:243], -0.5, v[2:3]
	v_add_f64 v[0:1], v[4:5], -v[0:1]
	s_waitcnt lgkmcnt(0)
	v_add_f64 v[2:3], v[228:229], v[232:233]
	v_add_f64 v[18:19], v[18:19], v[14:15]
	v_fma_f64 v[14:15], s[8:9], v[0:1], v[242:243]
	v_fmac_f64_e32 v[242:243], s[0:1], v[0:1]
	v_add_f64 v[0:1], v[236:237], v[228:229]
	v_fmac_f64_e32 v[236:237], -0.5, v[2:3]
	v_add_f64 v[2:3], v[230:231], -v[234:235]
	v_add_f64 v[6:7], v[230:231], v[234:235]
	v_fma_f64 v[4:5], s[0:1], v[2:3], v[236:237]
	v_fmac_f64_e32 v[236:237], s[8:9], v[2:3]
	v_add_f64 v[2:3], v[238:239], v[230:231]
	v_fmac_f64_e32 v[238:239], -0.5, v[6:7]
	v_add_f64 v[44:45], v[228:229], -v[232:233]
	v_fma_f64 v[6:7], s[8:9], v[44:45], v[238:239]
	v_fmac_f64_e32 v[238:239], s[0:1], v[44:45]
	v_add_f64 v[44:45], v[224:225], v[216:217]
	v_accvgpr_read_b32 v33, a7
	v_add_f64 v[0:1], v[0:1], v[232:233]
	v_fma_f64 v[232:233], -0.5, v[44:45], v[220:221]
	v_add_f64 v[44:45], v[226:227], -v[218:219]
	s_waitcnt lgkmcnt(0)
	; wave barrier
	ds_write_b128 v33, v[36:39]
	ds_write_b128 v33, v[40:43] offset:16
	ds_write_b128 v33, v[252:255] offset:32
	v_accvgpr_read_b32 v33, a60
	v_fma_f64 v[228:229], s[0:1], v[44:45], v[232:233]
	v_fmac_f64_e32 v[232:233], s[8:9], v[44:45]
	v_add_f64 v[44:45], v[226:227], v[218:219]
	ds_write_b128 v33, v[24:27]
	ds_write_b128 v33, v[28:31] offset:16
	ds_write_b128 v33, v[248:251] offset:32
	v_accvgpr_read_b32 v24, a61
	v_add_f64 v[2:3], v[2:3], v[234:235]
	v_fma_f64 v[234:235], -0.5, v[44:45], v[222:223]
	v_add_f64 v[44:45], v[224:225], -v[216:217]
	ds_write_b128 v24, v[16:19]
	ds_write_b128 v24, v[20:23] offset:16
	ds_write_b128 v24, v[244:247] offset:32
	v_accvgpr_read_b32 v16, a62
	v_fma_f64 v[230:231], s[8:9], v[44:45], v[234:235]
	v_fmac_f64_e32 v[234:235], s[0:1], v[44:45]
	ds_write_b128 v16, v[8:11]
	ds_write_b128 v16, v[12:15] offset:16
	ds_write_b128 v16, v[240:243] offset:32
	v_accvgpr_read_b32 v8, a63
	ds_write_b128 v8, v[0:3]
	ds_write_b128 v8, v[4:7] offset:16
	ds_write_b128 v8, v[236:239] offset:32
	s_and_saveexec_b64 s[0:1], vcc
	s_cbranch_execz .LBB0_21
; %bb.20:
	v_add_f64 v[0:1], v[222:223], v[226:227]
	v_add_f64 v[2:3], v[0:1], v[218:219]
	;; [unrolled: 1-line block ×3, first 2 shown]
	v_accvgpr_read_b32 v4, a64
	v_accvgpr_read_b32 v5, a72
	v_add_f64 v[0:1], v[0:1], v[216:217]
	v_lshl_add_u32 v4, v4, 4, v5
	ds_write_b128 v4, v[0:3]
	ds_write_b128 v4, v[228:231] offset:16
	ds_write_b128 v4, v[232:235] offset:32
.LBB0_21:
	s_or_b64 exec, exec, s[0:1]
	s_waitcnt lgkmcnt(0)
	; wave barrier
	s_waitcnt lgkmcnt(0)
	ds_read_b128 v[0:3], v50
	ds_read_b128 v[4:7], v50 offset:432
	ds_read_b128 v[8:11], v50 offset:864
	;; [unrolled: 1-line block ×15, first 2 shown]
	s_waitcnt lgkmcnt(14)
	v_mul_f64 v[48:49], v[74:75], v[6:7]
	v_fmac_f64_e32 v[48:49], v[72:73], v[4:5]
	v_mul_f64 v[4:5], v[74:75], v[4:5]
	v_fma_f64 v[4:5], v[72:73], v[6:7], -v[4:5]
	s_waitcnt lgkmcnt(13)
	v_mul_f64 v[6:7], v[70:71], v[10:11]
	v_fmac_f64_e32 v[6:7], v[68:69], v[8:9]
	v_mul_f64 v[8:9], v[70:71], v[8:9]
	v_fma_f64 v[8:9], v[68:69], v[10:11], -v[8:9]
	;; [unrolled: 5-line block ×11, first 2 shown]
	s_waitcnt lgkmcnt(3)
	v_mul_f64 v[54:55], v[94:95], v[218:219]
	v_mul_f64 v[60:61], v[94:95], v[216:217]
	s_waitcnt lgkmcnt(2)
	v_mul_f64 v[62:63], v[118:119], v[222:223]
	s_waitcnt lgkmcnt(1)
	v_mul_f64 v[66:67], v[114:115], v[226:227]
	v_mul_f64 v[68:69], v[114:115], v[224:225]
	s_waitcnt lgkmcnt(0)
	v_mul_f64 v[70:71], v[110:111], v[238:239]
	v_fmac_f64_e32 v[54:55], v[92:93], v[216:217]
	v_fma_f64 v[60:61], v[92:93], v[218:219], -v[60:61]
	v_fmac_f64_e32 v[62:63], v[116:117], v[220:221]
	v_mul_f64 v[64:65], v[118:119], v[220:221]
	v_fmac_f64_e32 v[66:67], v[112:113], v[224:225]
	v_fma_f64 v[68:69], v[112:113], v[226:227], -v[68:69]
	v_fmac_f64_e32 v[70:71], v[108:109], v[236:237]
	v_mul_f64 v[72:73], v[110:111], v[236:237]
	v_fma_f64 v[64:65], v[116:117], v[222:223], -v[64:65]
	v_fma_f64 v[72:73], v[108:109], v[238:239], -v[72:73]
	v_add_f64 v[30:31], v[0:1], -v[30:31]
	v_add_f64 v[36:37], v[2:3], -v[36:37]
	;; [unrolled: 1-line block ×12, first 2 shown]
	s_mov_b32 s0, 0x667f3bcd
	v_fma_f64 v[0:1], v[0:1], 2.0, -v[30:31]
	v_fma_f64 v[14:15], v[14:15], 2.0, -v[54:55]
	v_fma_f64 v[16:17], v[16:17], 2.0, -v[60:61]
	v_fma_f64 v[6:7], v[6:7], 2.0, -v[42:43]
	v_fma_f64 v[22:23], v[22:23], 2.0, -v[66:67]
	v_fma_f64 v[24:25], v[24:25], 2.0, -v[68:69]
	v_add_f64 v[40:41], v[4:5], -v[40:41]
	v_fma_f64 v[48:49], v[48:49], 2.0, -v[38:39]
	v_add_f64 v[64:65], v[20:21], -v[64:65]
	v_fma_f64 v[18:19], v[18:19], 2.0, -v[62:63]
	;; [unrolled: 2-line block ×4, first 2 shown]
	v_add_f64 v[60:61], v[30:31], v[60:61]
	v_add_f64 v[54:55], v[36:37], -v[54:55]
	v_add_f64 v[68:69], v[42:43], v[68:69]
	v_add_f64 v[66:67], v[44:45], -v[66:67]
	s_mov_b32 s1, 0xbfe6a09e
	s_mov_b32 s9, 0x3fe6a09e
	;; [unrolled: 1-line block ×3, first 2 shown]
	v_fma_f64 v[2:3], v[2:3], 2.0, -v[36:37]
	v_fma_f64 v[8:9], v[8:9], 2.0, -v[44:45]
	;; [unrolled: 1-line block ×6, first 2 shown]
	v_add_f64 v[14:15], v[0:1], -v[14:15]
	v_fma_f64 v[30:31], v[30:31], 2.0, -v[60:61]
	v_add_f64 v[22:23], v[6:7], -v[22:23]
	v_fma_f64 v[42:43], v[42:43], 2.0, -v[68:69]
	v_add_f64 v[18:19], v[48:49], -v[18:19]
	v_add_f64 v[26:27], v[10:11], -v[26:27]
	v_fma_f64 v[88:89], s[8:9], v[66:67], v[54:55]
	v_add_f64 v[16:17], v[2:3], -v[16:17]
	v_fma_f64 v[0:1], v[0:1], 2.0, -v[14:15]
	v_fma_f64 v[36:37], v[36:37], 2.0, -v[54:55]
	v_add_f64 v[24:25], v[8:9], -v[24:25]
	v_fma_f64 v[6:7], v[6:7], 2.0, -v[22:23]
	v_fma_f64 v[44:45], v[44:45], 2.0, -v[66:67]
	v_add_f64 v[20:21], v[4:5], -v[20:21]
	v_fma_f64 v[48:49], v[48:49], 2.0, -v[18:19]
	v_add_f64 v[64:65], v[38:39], v[64:65]
	v_add_f64 v[28:29], v[12:13], -v[28:29]
	v_fma_f64 v[10:11], v[10:11], 2.0, -v[26:27]
	v_add_f64 v[72:73], v[46:47], v[72:73]
	v_fma_f64 v[78:79], s[0:1], v[42:43], v[30:31]
	v_fma_f64 v[86:87], s[8:9], v[68:69], v[60:61]
	v_fmac_f64_e32 v[88:89], s[0:1], v[68:69]
	v_fma_f64 v[2:3], v[2:3], 2.0, -v[16:17]
	v_fma_f64 v[8:9], v[8:9], 2.0, -v[24:25]
	;; [unrolled: 1-line block ×3, first 2 shown]
	v_add_f64 v[62:63], v[40:41], -v[62:63]
	v_fma_f64 v[38:39], v[38:39], 2.0, -v[64:65]
	v_fma_f64 v[12:13], v[12:13], 2.0, -v[28:29]
	v_add_f64 v[70:71], v[52:53], -v[70:71]
	v_fma_f64 v[46:47], v[46:47], 2.0, -v[72:73]
	v_add_f64 v[74:75], v[0:1], -v[6:7]
	v_fma_f64 v[80:81], s[0:1], v[44:45], v[36:37]
	v_fmac_f64_e32 v[78:79], s[8:9], v[44:45]
	v_fmac_f64_e32 v[86:87], s[8:9], v[66:67]
	v_fma_f64 v[44:45], v[54:55], 2.0, -v[88:89]
	v_add_f64 v[54:55], v[48:49], -v[10:11]
	v_fma_f64 v[40:41], v[40:41], 2.0, -v[62:63]
	v_fma_f64 v[52:53], v[52:53], 2.0, -v[70:71]
	v_add_f64 v[76:77], v[2:3], -v[8:9]
	v_fma_f64 v[6:7], v[0:1], 2.0, -v[74:75]
	v_fmac_f64_e32 v[80:81], s[0:1], v[42:43]
	v_add_f64 v[84:85], v[16:17], -v[22:23]
	v_fma_f64 v[42:43], v[60:61], 2.0, -v[86:87]
	v_add_f64 v[60:61], v[4:5], -v[12:13]
	v_fma_f64 v[0:1], v[48:49], 2.0, -v[54:55]
	v_fma_f64 v[48:49], s[0:1], v[46:47], v[38:39]
	v_add_f64 v[90:91], v[20:21], -v[26:27]
	v_fma_f64 v[94:95], s[8:9], v[70:71], v[62:63]
	v_fma_f64 v[8:9], v[2:3], 2.0, -v[76:77]
	v_add_f64 v[82:83], v[14:15], v[24:25]
	v_fma_f64 v[24:25], v[16:17], 2.0, -v[84:85]
	v_fma_f64 v[2:3], v[4:5], 2.0, -v[60:61]
	v_fma_f64 v[66:67], s[0:1], v[52:53], v[40:41]
	v_fmac_f64_e32 v[48:49], s[8:9], v[52:53]
	v_add_f64 v[68:69], v[18:19], v[28:29]
	v_fma_f64 v[20:21], v[20:21], 2.0, -v[90:91]
	v_fma_f64 v[92:93], s[8:9], v[72:73], v[64:65]
	v_fmac_f64_e32 v[94:95], s[0:1], v[72:73]
	s_mov_b32 s12, 0xcf328d46
	s_mov_b32 s10, 0xa6aea964
	v_fma_f64 v[30:31], v[30:31], 2.0, -v[78:79]
	v_fma_f64 v[22:23], v[14:15], 2.0, -v[82:83]
	v_fmac_f64_e32 v[66:67], s[0:1], v[46:47]
	v_fma_f64 v[12:13], v[38:39], 2.0, -v[48:49]
	v_fma_f64 v[26:27], v[18:19], 2.0, -v[68:69]
	v_fmac_f64_e32 v[92:93], s[8:9], v[70:71]
	v_fma_f64 v[38:39], v[62:63], 2.0, -v[94:95]
	v_add_f64 v[0:1], v[6:7], -v[0:1]
	v_add_f64 v[2:3], v[8:9], -v[2:3]
	s_mov_b32 s13, 0xbfed906b
	s_mov_b32 s11, 0x3fd87de2
	s_mov_b32 s15, 0xbfd87de2
	s_mov_b32 s14, s10
	v_fma_f64 v[18:19], s[0:1], v[20:21], v[24:25]
	v_fma_f64 v[36:37], v[36:37], 2.0, -v[80:81]
	v_fma_f64 v[14:15], v[40:41], 2.0, -v[66:67]
	;; [unrolled: 1-line block ×5, first 2 shown]
	v_fma_f64 v[8:9], s[12:13], v[12:13], v[30:31]
	v_fma_f64 v[16:17], s[0:1], v[26:27], v[22:23]
	v_fmac_f64_e32 v[18:19], s[0:1], v[26:27]
	v_fma_f64 v[26:27], s[14:15], v[38:39], v[44:45]
	v_fma_f64 v[10:11], s[12:13], v[14:15], v[36:37]
	v_fmac_f64_e32 v[8:9], s[10:11], v[14:15]
	v_fmac_f64_e32 v[26:27], s[12:13], v[28:29]
	;; [unrolled: 1-line block ×3, first 2 shown]
	v_fma_f64 v[12:13], v[30:31], 2.0, -v[8:9]
	v_fmac_f64_e32 v[16:17], s[8:9], v[20:21]
	s_mov_b32 s17, 0x3fed906b
	s_mov_b32 s16, s12
	v_fma_f64 v[30:31], v[44:45], 2.0, -v[26:27]
	v_fma_f64 v[44:45], s[10:11], v[48:49], v[78:79]
	v_fma_f64 v[14:15], v[36:37], 2.0, -v[10:11]
	v_fma_f64 v[20:21], v[22:23], 2.0, -v[16:17]
	;; [unrolled: 1-line block ×3, first 2 shown]
	v_fma_f64 v[24:25], s[14:15], v[28:29], v[42:43]
	v_add_f64 v[36:37], v[74:75], v[60:61]
	v_fma_f64 v[46:47], s[10:11], v[66:67], v[80:81]
	v_fmac_f64_e32 v[44:45], s[16:17], v[66:67]
	v_fma_f64 v[64:65], s[8:9], v[68:69], v[82:83]
	v_fma_f64 v[66:67], s[8:9], v[90:91], v[84:85]
	;; [unrolled: 1-line block ×4, first 2 shown]
	v_fmac_f64_e32 v[24:25], s[16:17], v[38:39]
	v_fmac_f64_e32 v[64:65], s[8:9], v[90:91]
	;; [unrolled: 1-line block ×5, first 2 shown]
	v_fma_f64 v[28:29], v[42:43], 2.0, -v[24:25]
	v_add_f64 v[38:39], v[76:77], -v[54:55]
	v_fma_f64 v[40:41], v[74:75], 2.0, -v[36:37]
	v_fmac_f64_e32 v[46:47], s[12:13], v[48:49]
	v_fma_f64 v[68:69], v[82:83], 2.0, -v[64:65]
	v_fma_f64 v[70:71], v[84:85], 2.0, -v[66:67]
	;; [unrolled: 1-line block ×7, first 2 shown]
	s_waitcnt lgkmcnt(0)
	; wave barrier
	ds_write_b128 v35, v[4:7]
	ds_write_b128 v35, v[12:15] offset:48
	ds_write_b128 v35, v[20:23] offset:96
	;; [unrolled: 1-line block ×15, first 2 shown]
	s_waitcnt lgkmcnt(0)
	; wave barrier
	s_waitcnt lgkmcnt(0)
	ds_read_b128 v[88:91], v50
	ds_read_b128 v[84:87], v50 offset:432
	ds_read_b128 v[64:67], v50 offset:4608
	;; [unrolled: 1-line block ×14, first 2 shown]
	s_and_saveexec_b64 s[0:1], vcc
	s_cbranch_execz .LBB0_23
; %bb.22:
	ds_read_b128 v[60:63], v50 offset:2160
	ds_read_b128 v[228:231], v50 offset:4464
	;; [unrolled: 1-line block ×3, first 2 shown]
.LBB0_23:
	s_or_b64 exec, exec, s[0:1]
	s_waitcnt lgkmcnt(0)
	v_mul_f64 v[92:93], v[154:155], v[2:3]
	v_mul_f64 v[36:37], v[126:127], v[70:71]
	v_mul_f64 v[40:41], v[122:123], v[66:67]
	v_mul_f64 v[44:45], v[134:135], v[30:31]
	v_fmac_f64_e32 v[92:93], v[152:153], v[0:1]
	v_mul_f64 v[0:1], v[154:155], v[0:1]
	v_fmac_f64_e32 v[36:37], v[124:125], v[68:69]
	v_mul_f64 v[38:39], v[126:127], v[68:69]
	v_fmac_f64_e32 v[40:41], v[120:121], v[64:65]
	v_mul_f64 v[42:43], v[122:123], v[64:65]
	v_fmac_f64_e32 v[44:45], v[132:133], v[28:29]
	v_mul_f64 v[28:29], v[134:135], v[28:29]
	v_mul_f64 v[68:69], v[158:159], v[6:7]
	v_fma_f64 v[94:95], v[152:153], v[2:3], -v[0:1]
	v_mul_f64 v[0:1], v[166:167], v[228:229]
	v_fma_f64 v[38:39], v[124:125], v[70:71], -v[38:39]
	v_fma_f64 v[42:43], v[120:121], v[66:67], -v[42:43]
	;; [unrolled: 1-line block ×3, first 2 shown]
	v_mul_f64 v[30:31], v[130:131], v[26:27]
	v_mul_f64 v[64:65], v[146:147], v[10:11]
	v_fmac_f64_e32 v[68:69], v[156:157], v[4:5]
	v_mul_f64 v[4:5], v[158:159], v[4:5]
	v_fma_f64 v[98:99], v[164:165], v[230:231], -v[0:1]
	v_mul_f64 v[0:1], v[162:163], v[232:233]
	v_add_f64 v[2:3], v[36:37], v[40:41]
	s_mov_b32 s0, 0xe8584caa
	v_fmac_f64_e32 v[30:31], v[128:129], v[24:25]
	v_mul_f64 v[24:25], v[130:131], v[24:25]
	v_mul_f64 v[46:47], v[138:139], v[14:15]
	v_fmac_f64_e32 v[64:65], v[144:145], v[8:9]
	v_mul_f64 v[8:9], v[146:147], v[8:9]
	v_fma_f64 v[70:71], v[156:157], v[6:7], -v[4:5]
	v_fma_f64 v[102:103], v[160:161], v[234:235], -v[0:1]
	v_add_f64 v[0:1], v[88:89], v[36:37]
	v_fmac_f64_e32 v[88:89], -0.5, v[2:3]
	v_add_f64 v[2:3], v[38:39], -v[42:43]
	s_mov_b32 s1, 0xbfebb67a
	s_mov_b32 s9, 0x3febb67a
	;; [unrolled: 1-line block ×3, first 2 shown]
	v_add_f64 v[6:7], v[38:39], v[42:43]
	v_fma_f64 v[24:25], v[128:129], v[26:27], -v[24:25]
	v_mul_f64 v[26:27], v[142:143], v[22:23]
	v_fmac_f64_e32 v[46:47], v[136:137], v[12:13]
	v_mul_f64 v[12:13], v[138:139], v[12:13]
	v_fma_f64 v[66:67], v[144:145], v[10:11], -v[8:9]
	v_fma_f64 v[4:5], s[0:1], v[2:3], v[88:89]
	v_fmac_f64_e32 v[88:89], s[8:9], v[2:3]
	v_add_f64 v[2:3], v[90:91], v[38:39]
	v_fmac_f64_e32 v[90:91], -0.5, v[6:7]
	v_add_f64 v[8:9], v[36:37], -v[40:41]
	v_add_f64 v[10:11], v[44:45], v[30:31]
	v_fmac_f64_e32 v[26:27], v[140:141], v[20:21]
	v_mul_f64 v[20:21], v[142:143], v[20:21]
	v_fma_f64 v[48:49], v[136:137], v[14:15], -v[12:13]
	v_mul_f64 v[52:53], v[150:151], v[18:19]
	v_mul_f64 v[12:13], v[150:151], v[16:17]
	v_fma_f64 v[6:7], s[8:9], v[8:9], v[90:91]
	v_fmac_f64_e32 v[90:91], s[0:1], v[8:9]
	v_add_f64 v[8:9], v[84:85], v[44:45]
	v_fmac_f64_e32 v[84:85], -0.5, v[10:11]
	v_add_f64 v[10:11], v[28:29], -v[24:25]
	v_add_f64 v[14:15], v[28:29], v[24:25]
	v_fma_f64 v[22:23], v[140:141], v[22:23], -v[20:21]
	v_fmac_f64_e32 v[52:53], v[148:149], v[16:17]
	v_fma_f64 v[54:55], v[148:149], v[18:19], -v[12:13]
	v_fma_f64 v[12:13], s[0:1], v[10:11], v[84:85]
	v_fmac_f64_e32 v[84:85], s[8:9], v[10:11]
	v_add_f64 v[10:11], v[86:87], v[28:29]
	v_fmac_f64_e32 v[86:87], -0.5, v[14:15]
	v_add_f64 v[16:17], v[44:45], -v[30:31]
	v_add_f64 v[18:19], v[26:27], v[46:47]
	v_fma_f64 v[14:15], s[8:9], v[16:17], v[86:87]
	v_fmac_f64_e32 v[86:87], s[0:1], v[16:17]
	v_add_f64 v[16:17], v[80:81], v[26:27]
	v_fmac_f64_e32 v[80:81], -0.5, v[18:19]
	v_add_f64 v[18:19], v[22:23], -v[48:49]
	v_fma_f64 v[20:21], s[0:1], v[18:19], v[80:81]
	v_fmac_f64_e32 v[80:81], s[8:9], v[18:19]
	v_add_f64 v[18:19], v[82:83], v[22:23]
	v_add_f64 v[22:23], v[22:23], v[48:49]
	;; [unrolled: 1-line block ×3, first 2 shown]
	v_fmac_f64_e32 v[82:83], -0.5, v[22:23]
	v_add_f64 v[24:25], v[26:27], -v[46:47]
	v_add_f64 v[26:27], v[52:53], v[64:65]
	v_add_f64 v[8:9], v[8:9], v[30:31]
	v_fma_f64 v[22:23], s[8:9], v[24:25], v[82:83]
	v_fmac_f64_e32 v[82:83], s[0:1], v[24:25]
	v_add_f64 v[24:25], v[76:77], v[52:53]
	v_fmac_f64_e32 v[76:77], -0.5, v[26:27]
	v_add_f64 v[26:27], v[54:55], -v[66:67]
	v_add_f64 v[30:31], v[54:55], v[66:67]
	v_fma_f64 v[28:29], s[0:1], v[26:27], v[76:77]
	v_fmac_f64_e32 v[76:77], s[8:9], v[26:27]
	v_add_f64 v[26:27], v[78:79], v[54:55]
	v_fmac_f64_e32 v[78:79], -0.5, v[30:31]
	v_add_f64 v[36:37], v[52:53], -v[64:65]
	v_add_f64 v[38:39], v[68:69], v[92:93]
	v_mul_f64 v[96:97], v[166:167], v[230:231]
	v_add_f64 v[2:3], v[2:3], v[42:43]
	v_fma_f64 v[30:31], s[8:9], v[36:37], v[78:79]
	v_fmac_f64_e32 v[78:79], s[0:1], v[36:37]
	v_add_f64 v[36:37], v[72:73], v[68:69]
	v_fmac_f64_e32 v[72:73], -0.5, v[38:39]
	v_add_f64 v[38:39], v[70:71], -v[94:95]
	v_add_f64 v[42:43], v[70:71], v[94:95]
	v_fmac_f64_e32 v[96:97], v[164:165], v[228:229]
	v_mul_f64 v[100:101], v[162:163], v[234:235]
	v_add_f64 v[0:1], v[0:1], v[40:41]
	v_fma_f64 v[40:41], s[0:1], v[38:39], v[72:73]
	v_fmac_f64_e32 v[72:73], s[8:9], v[38:39]
	v_add_f64 v[38:39], v[74:75], v[70:71]
	v_fmac_f64_e32 v[74:75], -0.5, v[42:43]
	v_add_f64 v[44:45], v[68:69], -v[92:93]
	v_fmac_f64_e32 v[100:101], v[160:161], v[232:233]
	v_fma_f64 v[42:43], s[8:9], v[44:45], v[74:75]
	v_fmac_f64_e32 v[74:75], s[0:1], v[44:45]
	v_add_f64 v[44:45], v[60:61], v[96:97]
	v_add_f64 v[24:25], v[24:25], v[64:65]
	;; [unrolled: 1-line block ×4, first 2 shown]
	v_fmac_f64_e32 v[60:61], -0.5, v[44:45]
	v_add_f64 v[44:45], v[98:99], -v[102:103]
	v_fma_f64 v[68:69], s[0:1], v[44:45], v[60:61]
	v_fmac_f64_e32 v[60:61], s[8:9], v[44:45]
	v_add_f64 v[44:45], v[62:63], v[98:99]
	s_waitcnt lgkmcnt(0)
	; wave barrier
	ds_write_b128 v50, v[0:3]
	ds_write_b128 v50, v[4:7] offset:768
	ds_write_b128 v50, v[88:91] offset:1536
	v_accvgpr_read_b32 v0, a67
	v_add_f64 v[16:17], v[16:17], v[46:47]
	v_add_f64 v[18:19], v[18:19], v[48:49]
	;; [unrolled: 1-line block ×5, first 2 shown]
	ds_write_b128 v0, v[8:11]
	ds_write_b128 v0, v[12:15] offset:768
	ds_write_b128 v0, v[84:87] offset:1536
	;; [unrolled: 1-line block ×3, first 2 shown]
	v_accvgpr_read_b32 v0, a70
	v_fmac_f64_e32 v[62:63], -0.5, v[44:45]
	v_add_f64 v[44:45], v[96:97], -v[100:101]
	ds_write_b128 v0, v[20:23] offset:3072
	ds_write_b128 v50, v[80:83] offset:3936
	v_accvgpr_read_b32 v0, a68
	v_add_f64 v[36:37], v[36:37], v[92:93]
	v_add_f64 v[38:39], v[38:39], v[94:95]
	v_fma_f64 v[70:71], s[8:9], v[44:45], v[62:63]
	v_fmac_f64_e32 v[62:63], s[0:1], v[44:45]
	ds_write_b128 v0, v[24:27]
	ds_write_b128 v0, v[28:31] offset:768
	ds_write_b128 v0, v[76:79] offset:1536
	v_accvgpr_read_b32 v0, a69
	ds_write_b128 v0, v[36:39] offset:4608
	ds_write_b128 v0, v[40:43] offset:5376
	;; [unrolled: 1-line block ×3, first 2 shown]
	s_and_saveexec_b64 s[0:1], vcc
	s_cbranch_execz .LBB0_25
; %bb.24:
	v_accvgpr_read_b32 v0, a65
	v_and_b32_e32 v0, 0xff, v0
	v_accvgpr_read_b32 v1, a72
	v_lshl_add_u32 v0, v0, 4, v1
	ds_write_b128 v0, v[64:67] offset:4608
	ds_write_b128 v0, v[68:71] offset:5376
	;; [unrolled: 1-line block ×3, first 2 shown]
.LBB0_25:
	s_or_b64 exec, exec, s[0:1]
	s_waitcnt lgkmcnt(0)
	; wave barrier
	s_waitcnt lgkmcnt(0)
	ds_read_b128 v[88:91], v50
	ds_read_b128 v[84:87], v50 offset:432
	ds_read_b128 v[92:95], v50 offset:4608
	;; [unrolled: 1-line block ×14, first 2 shown]
	v_accvgpr_read_b32 v33, a71
	v_add_u32_e32 v33, 0x6c0, v33
	s_and_saveexec_b64 s[0:1], vcc
	s_cbranch_execz .LBB0_27
; %bb.26:
	ds_read_b128 v[64:67], v50 offset:2160
	ds_read_b128 v[68:71], v50 offset:4464
	;; [unrolled: 1-line block ×3, first 2 shown]
.LBB0_27:
	s_or_b64 exec, exec, s[0:1]
	s_waitcnt lgkmcnt(4)
	v_mul_f64 v[36:37], v[178:179], v[98:99]
	v_mul_f64 v[40:41], v[170:171], v[94:95]
	;; [unrolled: 1-line block ×3, first 2 shown]
	s_waitcnt lgkmcnt(0)
	v_mul_f64 v[100:101], v[210:211], v[2:3]
	v_fmac_f64_e32 v[36:37], v[176:177], v[96:97]
	v_mul_f64 v[38:39], v[178:179], v[96:97]
	v_fmac_f64_e32 v[40:41], v[168:169], v[92:93]
	v_mul_f64 v[42:43], v[170:171], v[92:93]
	v_fmac_f64_e32 v[44:45], v[188:189], v[28:29]
	v_mul_f64 v[28:29], v[190:191], v[28:29]
	v_mul_f64 v[96:97], v[214:215], v[6:7]
	v_fmac_f64_e32 v[100:101], v[208:209], v[0:1]
	v_mul_f64 v[0:1], v[210:211], v[0:1]
	v_fma_f64 v[38:39], v[176:177], v[98:99], -v[38:39]
	v_fma_f64 v[42:43], v[168:169], v[94:95], -v[42:43]
	;; [unrolled: 1-line block ×3, first 2 shown]
	v_mul_f64 v[30:31], v[186:187], v[26:27]
	v_mul_f64 v[92:93], v[202:203], v[10:11]
	v_fmac_f64_e32 v[96:97], v[212:213], v[4:5]
	v_mul_f64 v[4:5], v[214:215], v[4:5]
	v_fma_f64 v[102:103], v[208:209], v[2:3], -v[0:1]
	v_add_f64 v[2:3], v[36:37], v[40:41]
	s_mov_b32 s0, 0xe8584caa
	v_fmac_f64_e32 v[30:31], v[184:185], v[24:25]
	v_mul_f64 v[24:25], v[186:187], v[24:25]
	v_mul_f64 v[46:47], v[194:195], v[14:15]
	v_fmac_f64_e32 v[92:93], v[200:201], v[8:9]
	v_mul_f64 v[8:9], v[202:203], v[8:9]
	v_fma_f64 v[98:99], v[212:213], v[6:7], -v[4:5]
	v_add_f64 v[0:1], v[88:89], v[36:37]
	v_fmac_f64_e32 v[88:89], -0.5, v[2:3]
	v_add_f64 v[2:3], v[38:39], -v[42:43]
	s_mov_b32 s1, 0xbfebb67a
	s_mov_b32 s8, s0
	v_add_f64 v[6:7], v[38:39], v[42:43]
	v_fma_f64 v[24:25], v[184:185], v[26:27], -v[24:25]
	v_mul_f64 v[26:27], v[198:199], v[22:23]
	v_fmac_f64_e32 v[46:47], v[192:193], v[12:13]
	v_mul_f64 v[12:13], v[194:195], v[12:13]
	v_fma_f64 v[94:95], v[200:201], v[10:11], -v[8:9]
	v_fma_f64 v[4:5], s[0:1], v[2:3], v[88:89]
	v_fmac_f64_e32 v[88:89], s[8:9], v[2:3]
	v_add_f64 v[2:3], v[90:91], v[38:39]
	v_fmac_f64_e32 v[90:91], -0.5, v[6:7]
	v_add_f64 v[8:9], v[36:37], -v[40:41]
	v_add_f64 v[10:11], v[44:45], v[30:31]
	v_fmac_f64_e32 v[26:27], v[196:197], v[20:21]
	v_mul_f64 v[20:21], v[198:199], v[20:21]
	v_fma_f64 v[48:49], v[192:193], v[14:15], -v[12:13]
	v_mul_f64 v[52:53], v[206:207], v[18:19]
	v_mul_f64 v[12:13], v[206:207], v[16:17]
	v_fma_f64 v[6:7], s[8:9], v[8:9], v[90:91]
	v_fmac_f64_e32 v[90:91], s[0:1], v[8:9]
	v_add_f64 v[8:9], v[84:85], v[44:45]
	v_fmac_f64_e32 v[84:85], -0.5, v[10:11]
	v_add_f64 v[10:11], v[28:29], -v[24:25]
	v_add_f64 v[14:15], v[28:29], v[24:25]
	v_fma_f64 v[22:23], v[196:197], v[22:23], -v[20:21]
	v_fmac_f64_e32 v[52:53], v[204:205], v[16:17]
	v_fma_f64 v[54:55], v[204:205], v[18:19], -v[12:13]
	v_fma_f64 v[12:13], s[0:1], v[10:11], v[84:85]
	v_fmac_f64_e32 v[84:85], s[8:9], v[10:11]
	v_add_f64 v[10:11], v[86:87], v[28:29]
	v_fmac_f64_e32 v[86:87], -0.5, v[14:15]
	v_add_f64 v[16:17], v[44:45], -v[30:31]
	v_add_f64 v[18:19], v[26:27], v[46:47]
	v_fma_f64 v[14:15], s[8:9], v[16:17], v[86:87]
	v_fmac_f64_e32 v[86:87], s[0:1], v[16:17]
	v_add_f64 v[16:17], v[80:81], v[26:27]
	v_fmac_f64_e32 v[80:81], -0.5, v[18:19]
	v_add_f64 v[18:19], v[22:23], -v[48:49]
	v_fma_f64 v[20:21], s[0:1], v[18:19], v[80:81]
	v_fmac_f64_e32 v[80:81], s[8:9], v[18:19]
	v_add_f64 v[18:19], v[82:83], v[22:23]
	v_add_f64 v[22:23], v[22:23], v[48:49]
	;; [unrolled: 1-line block ×3, first 2 shown]
	v_fmac_f64_e32 v[82:83], -0.5, v[22:23]
	v_add_f64 v[24:25], v[26:27], -v[46:47]
	v_add_f64 v[26:27], v[52:53], v[92:93]
	v_add_f64 v[8:9], v[8:9], v[30:31]
	v_fma_f64 v[22:23], s[8:9], v[24:25], v[82:83]
	v_fmac_f64_e32 v[82:83], s[0:1], v[24:25]
	v_add_f64 v[24:25], v[76:77], v[52:53]
	v_fmac_f64_e32 v[76:77], -0.5, v[26:27]
	v_add_f64 v[26:27], v[54:55], -v[94:95]
	v_add_f64 v[30:31], v[54:55], v[94:95]
	v_fma_f64 v[28:29], s[0:1], v[26:27], v[76:77]
	v_fmac_f64_e32 v[76:77], s[8:9], v[26:27]
	v_add_f64 v[26:27], v[78:79], v[54:55]
	v_fmac_f64_e32 v[78:79], -0.5, v[30:31]
	v_add_f64 v[36:37], v[52:53], -v[92:93]
	v_add_f64 v[38:39], v[96:97], v[100:101]
	v_add_f64 v[2:3], v[2:3], v[42:43]
	v_fma_f64 v[30:31], s[8:9], v[36:37], v[78:79]
	v_fmac_f64_e32 v[78:79], s[0:1], v[36:37]
	v_add_f64 v[36:37], v[72:73], v[96:97]
	v_fmac_f64_e32 v[72:73], -0.5, v[38:39]
	v_add_f64 v[38:39], v[98:99], -v[102:103]
	v_add_f64 v[42:43], v[98:99], v[102:103]
	;; [unrolled: 7-line block ×3, first 2 shown]
	v_add_f64 v[18:19], v[18:19], v[48:49]
	v_add_f64 v[24:25], v[24:25], v[92:93]
	;; [unrolled: 1-line block ×5, first 2 shown]
	v_fma_f64 v[42:43], s[8:9], v[44:45], v[74:75]
	v_fmac_f64_e32 v[74:75], s[0:1], v[44:45]
	ds_write_b128 v50, v[0:3]
	ds_write_b128 v50, v[4:7] offset:2304
	ds_write_b128 v50, v[88:91] offset:4608
	;; [unrolled: 1-line block ×14, first 2 shown]
	s_and_saveexec_b64 s[10:11], vcc
	s_cbranch_execz .LBB0_29
; %bb.28:
	v_mul_f64 v[0:1], v[182:183], v[68:69]
	v_fma_f64 v[4:5], v[180:181], v[70:71], -v[0:1]
	v_mul_f64 v[0:1], v[174:175], v[60:61]
	v_fma_f64 v[8:9], v[172:173], v[62:63], -v[0:1]
	v_mul_f64 v[12:13], v[182:183], v[70:71]
	v_mul_f64 v[14:15], v[174:175], v[62:63]
	v_add_f64 v[0:1], v[4:5], v[8:9]
	v_fmac_f64_e32 v[12:13], v[180:181], v[68:69]
	v_fmac_f64_e32 v[14:15], v[172:173], v[60:61]
	v_fma_f64 v[2:3], -0.5, v[0:1], v[66:67]
	v_add_f64 v[0:1], v[12:13], -v[14:15]
	v_fma_f64 v[6:7], s[0:1], v[0:1], v[2:3]
	v_fmac_f64_e32 v[2:3], s[8:9], v[0:1]
	v_add_f64 v[0:1], v[66:67], v[4:5]
	v_add_f64 v[10:11], v[0:1], v[8:9]
	;; [unrolled: 1-line block ×3, first 2 shown]
	v_fma_f64 v[0:1], -0.5, v[0:1], v[64:65]
	v_add_f64 v[8:9], v[4:5], -v[8:9]
	v_fma_f64 v[4:5], s[8:9], v[8:9], v[0:1]
	v_fmac_f64_e32 v[0:1], s[0:1], v[8:9]
	v_add_f64 v[8:9], v[64:65], v[12:13]
	v_add_f64 v[8:9], v[8:9], v[14:15]
	ds_write_b128 v50, v[8:11] offset:2160
	ds_write_b128 v50, v[0:3] offset:4464
	ds_write_b128 v50, v[4:7] offset:6768
.LBB0_29:
	s_or_b64 exec, exec, s[10:11]
	s_waitcnt lgkmcnt(0)
	; wave barrier
	s_waitcnt lgkmcnt(0)
	ds_read_b128 v[0:3], v50
	v_mad_u64_u32 v[14:15], s[0:1], s6, v34, 0
	v_mov_b32_e32 v4, v15
	v_mad_u64_u32 v[4:5], s[0:1], s7, v34, v[4:5]
	v_mov_b32_e32 v15, v4
	ds_read_b128 v[4:7], v50 offset:432
	s_waitcnt lgkmcnt(1)
	v_mul_f64 v[8:9], v[58:59], v[2:3]
	v_fmac_f64_e32 v[8:9], v[56:57], v[0:1]
	s_mov_b32 s0, 0xbda12f68
	v_mul_f64 v[0:1], v[58:59], v[0:1]
	v_mov_b32_e32 v12, s2
	v_mov_b32_e32 v13, s3
	s_mov_b32 s1, 0x3f62f684
	v_fma_f64 v[0:1], v[56:57], v[2:3], -v[0:1]
	v_mad_u64_u32 v[16:17], s[2:3], s4, v32, 0
	v_mul_f64 v[10:11], v[0:1], s[0:1]
	v_mov_b32_e32 v0, v17
	v_mad_u64_u32 v[0:1], s[2:3], s5, v32, v[0:1]
	v_mov_b32_e32 v17, v0
	ds_read_b128 v[0:3], v50 offset:2304
	v_lshl_add_u64 v[20:21], v[14:15], 4, v[12:13]
	v_accvgpr_read_b32 v25, a5
	v_mul_f64 v[8:9], v[8:9], s[0:1]
	v_lshl_add_u64 v[16:17], v[16:17], 4, v[20:21]
	v_accvgpr_read_b32 v24, a4
	global_store_dwordx4 v[16:17], v[8:11], off
	ds_read_b128 v[8:11], v50 offset:1728
	v_accvgpr_read_b32 v23, a3
	v_accvgpr_read_b32 v22, a2
	s_waitcnt lgkmcnt(1)
	v_mul_f64 v[12:13], v[24:25], v[2:3]
	v_fmac_f64_e32 v[12:13], v[22:23], v[0:1]
	v_mul_f64 v[0:1], v[24:25], v[0:1]
	v_fma_f64 v[0:1], v[22:23], v[2:3], -v[0:1]
	v_mul_f64 v[14:15], v[0:1], s[0:1]
	ds_read_b128 v[0:3], v50 offset:4608
	s_mul_i32 s2, s5, 0x90
	s_mul_hi_u32 s3, s4, 0x90
	s_add_i32 s3, s3, s2
	s_mul_i32 s2, s4, 0x90
	s_lshl_b64 s[2:3], s[2:3], 4
	v_accvgpr_read_b32 v27, a11
	v_mul_f64 v[12:13], v[12:13], s[0:1]
	v_lshl_add_u64 v[22:23], v[16:17], 0, s[2:3]
	v_accvgpr_read_b32 v26, a10
	global_store_dwordx4 v[22:23], v[12:15], off
	ds_read_b128 v[12:15], v50 offset:5040
	v_accvgpr_read_b32 v25, a9
	v_accvgpr_read_b32 v24, a8
	s_waitcnt lgkmcnt(1)
	v_mul_f64 v[16:17], v[26:27], v[2:3]
	v_fmac_f64_e32 v[16:17], v[24:25], v[0:1]
	v_mul_f64 v[0:1], v[26:27], v[0:1]
	v_fma_f64 v[0:1], v[24:25], v[2:3], -v[0:1]
	v_accvgpr_read_b32 v3, a6
	v_mul_f64 v[18:19], v[0:1], s[0:1]
	v_mad_u64_u32 v[0:1], s[6:7], s4, v3, 0
	v_mov_b32_e32 v2, v1
	v_mad_u64_u32 v[2:3], s[6:7], s5, v3, v[2:3]
	v_mov_b32_e32 v1, v2
	v_mul_f64 v[16:17], v[16:17], s[0:1]
	v_lshl_add_u64 v[0:1], v[0:1], 4, v[20:21]
	global_store_dwordx4 v[0:1], v[16:19], off
	s_nop 1
	v_accvgpr_read_b32 v19, a15
	v_accvgpr_read_b32 v18, a14
	;; [unrolled: 1-line block ×4, first 2 shown]
	v_mul_f64 v[0:1], v[18:19], v[6:7]
	v_fmac_f64_e32 v[0:1], v[16:17], v[4:5]
	v_mul_f64 v[2:3], v[18:19], v[4:5]
	v_mov_b32_e32 v4, 0xfffff8b0
	v_fma_f64 v[2:3], v[16:17], v[6:7], -v[2:3]
	v_mad_u64_u32 v[20:21], s[6:7], s4, v4, v[22:23]
	ds_read_b128 v[4:7], v50 offset:2736
	s_mul_i32 s6, s5, 0xfffff8b0
	s_sub_i32 s6, s6, s4
	v_accvgpr_read_b32 v25, a23
	v_mul_f64 v[0:1], v[0:1], s[0:1]
	v_mul_f64 v[2:3], v[2:3], s[0:1]
	v_add_u32_e32 v21, s6, v21
	v_accvgpr_read_b32 v24, a22
	global_store_dwordx4 v[20:21], v[0:3], off
	ds_read_b128 v[0:3], v50 offset:3168
	v_accvgpr_read_b32 v23, a21
	v_accvgpr_read_b32 v22, a20
	s_waitcnt lgkmcnt(1)
	v_mul_f64 v[16:17], v[24:25], v[6:7]
	v_fmac_f64_e32 v[16:17], v[22:23], v[4:5]
	v_mul_f64 v[4:5], v[24:25], v[4:5]
	v_fma_f64 v[4:5], v[22:23], v[6:7], -v[4:5]
	v_mul_f64 v[16:17], v[16:17], s[0:1]
	v_mul_f64 v[18:19], v[4:5], s[0:1]
	v_lshl_add_u64 v[20:21], v[20:21], 0, s[2:3]
	global_store_dwordx4 v[20:21], v[16:19], off
	v_accvgpr_read_b32 v22, a24
	v_lshl_add_u64 v[20:21], v[20:21], 0, s[2:3]
	v_accvgpr_read_b32 v16, a16
	v_accvgpr_read_b32 v18, a18
	;; [unrolled: 1-line block ×4, first 2 shown]
	v_mul_f64 v[4:5], v[18:19], v[14:15]
	v_mul_f64 v[6:7], v[18:19], v[12:13]
	v_fmac_f64_e32 v[4:5], v[16:17], v[12:13]
	v_fma_f64 v[6:7], v[16:17], v[14:15], -v[6:7]
	ds_read_b128 v[12:15], v50 offset:864
	v_mul_f64 v[4:5], v[4:5], s[0:1]
	v_mul_f64 v[6:7], v[6:7], s[0:1]
	v_accvgpr_read_b32 v24, a26
	v_accvgpr_read_b32 v25, a27
	s_mul_hi_u32 s6, s4, 0xfffffefb
	global_store_dwordx4 v[20:21], v[4:7], off
	ds_read_b128 v[4:7], v50 offset:1296
	v_accvgpr_read_b32 v23, a25
	s_waitcnt lgkmcnt(1)
	v_mul_f64 v[16:17], v[24:25], v[14:15]
	s_mulk_i32 s5, 0xfefb
	s_sub_i32 s6, s6, s4
	v_fmac_f64_e32 v[16:17], v[22:23], v[12:13]
	v_mul_f64 v[12:13], v[24:25], v[12:13]
	s_add_i32 s5, s6, s5
	s_mulk_i32 s4, 0xfefb
	v_fma_f64 v[12:13], v[22:23], v[14:15], -v[12:13]
	s_lshl_b64 s[6:7], s[4:5], 4
	v_mul_f64 v[16:17], v[16:17], s[0:1]
	v_mul_f64 v[18:19], v[12:13], s[0:1]
	v_lshl_add_u64 v[20:21], v[20:21], 0, s[6:7]
	global_store_dwordx4 v[20:21], v[16:19], off
	v_accvgpr_read_b32 v14, a28
	v_accvgpr_read_b32 v15, a29
	;; [unrolled: 1-line block ×4, first 2 shown]
	v_mul_f64 v[12:13], v[16:17], v[2:3]
	v_fmac_f64_e32 v[12:13], v[14:15], v[0:1]
	v_mul_f64 v[0:1], v[16:17], v[0:1]
	v_fma_f64 v[14:15], v[14:15], v[2:3], -v[0:1]
	ds_read_b128 v[0:3], v50 offset:5472
	v_accvgpr_read_b32 v22, a32
	v_mul_f64 v[12:13], v[12:13], s[0:1]
	v_mul_f64 v[14:15], v[14:15], s[0:1]
	v_lshl_add_u64 v[20:21], v[20:21], 0, s[2:3]
	v_accvgpr_read_b32 v24, a34
	v_accvgpr_read_b32 v25, a35
	global_store_dwordx4 v[20:21], v[12:15], off
	ds_read_b128 v[12:15], v50 offset:5904
	v_accvgpr_read_b32 v23, a33
	s_waitcnt lgkmcnt(1)
	v_mul_f64 v[16:17], v[24:25], v[2:3]
	v_fmac_f64_e32 v[16:17], v[22:23], v[0:1]
	v_mul_f64 v[0:1], v[24:25], v[0:1]
	v_fma_f64 v[0:1], v[22:23], v[2:3], -v[0:1]
	v_mul_f64 v[16:17], v[16:17], s[0:1]
	v_mul_f64 v[18:19], v[0:1], s[0:1]
	v_lshl_add_u64 v[20:21], v[20:21], 0, s[2:3]
	global_store_dwordx4 v[20:21], v[16:19], off
	v_accvgpr_read_b32 v22, a36
	v_lshl_add_u64 v[20:21], v[20:21], 0, s[6:7]
	v_accvgpr_read_b32 v16, a40
	v_accvgpr_read_b32 v18, a42
	;; [unrolled: 1-line block ×4, first 2 shown]
	v_mul_f64 v[0:1], v[18:19], v[6:7]
	v_mul_f64 v[2:3], v[18:19], v[4:5]
	v_fmac_f64_e32 v[0:1], v[16:17], v[4:5]
	v_fma_f64 v[2:3], v[16:17], v[6:7], -v[2:3]
	ds_read_b128 v[4:7], v50 offset:3600
	v_mul_f64 v[0:1], v[0:1], s[0:1]
	v_mul_f64 v[2:3], v[2:3], s[0:1]
	v_accvgpr_read_b32 v24, a38
	v_accvgpr_read_b32 v25, a39
	global_store_dwordx4 v[20:21], v[0:3], off
	ds_read_b128 v[0:3], v50 offset:4032
	v_accvgpr_read_b32 v23, a37
	s_waitcnt lgkmcnt(1)
	v_mul_f64 v[16:17], v[24:25], v[6:7]
	v_fmac_f64_e32 v[16:17], v[22:23], v[4:5]
	v_mul_f64 v[4:5], v[24:25], v[4:5]
	v_fma_f64 v[4:5], v[22:23], v[6:7], -v[4:5]
	v_mul_f64 v[16:17], v[16:17], s[0:1]
	v_mul_f64 v[18:19], v[4:5], s[0:1]
	v_lshl_add_u64 v[20:21], v[20:21], 0, s[2:3]
	global_store_dwordx4 v[20:21], v[16:19], off
	s_nop 1
	v_accvgpr_read_b32 v16, a44
	v_accvgpr_read_b32 v18, a46
	;; [unrolled: 1-line block ×4, first 2 shown]
	v_mul_f64 v[4:5], v[18:19], v[14:15]
	v_mul_f64 v[6:7], v[18:19], v[12:13]
	v_fmac_f64_e32 v[4:5], v[16:17], v[12:13]
	v_fma_f64 v[6:7], v[16:17], v[14:15], -v[6:7]
	v_accvgpr_read_b32 v14, a48
	v_mul_f64 v[4:5], v[4:5], s[0:1]
	v_mul_f64 v[6:7], v[6:7], s[0:1]
	v_lshl_add_u64 v[12:13], v[20:21], 0, s[2:3]
	v_accvgpr_read_b32 v16, a50
	v_accvgpr_read_b32 v17, a51
	global_store_dwordx4 v[12:13], v[4:7], off
	v_accvgpr_read_b32 v15, a49
	v_lshl_add_u64 v[12:13], v[12:13], 0, s[6:7]
	v_mul_f64 v[4:5], v[16:17], v[10:11]
	v_mul_f64 v[6:7], v[16:17], v[8:9]
	v_fmac_f64_e32 v[4:5], v[14:15], v[8:9]
	v_fma_f64 v[6:7], v[14:15], v[10:11], -v[6:7]
	v_mul_f64 v[4:5], v[4:5], s[0:1]
	v_mul_f64 v[6:7], v[6:7], s[0:1]
	global_store_dwordx4 v[12:13], v[4:7], off
	s_nop 1
	v_accvgpr_read_b32 v6, a52
	v_accvgpr_read_b32 v8, a54
	;; [unrolled: 1-line block ×4, first 2 shown]
	s_waitcnt lgkmcnt(0)
	v_mul_f64 v[4:5], v[8:9], v[2:3]
	v_fmac_f64_e32 v[4:5], v[6:7], v[0:1]
	v_mul_f64 v[0:1], v[8:9], v[0:1]
	ds_read_b128 v[8:11], v50 offset:6336
	v_fma_f64 v[0:1], v[6:7], v[2:3], -v[0:1]
	v_mul_f64 v[6:7], v[0:1], s[0:1]
	v_lshl_add_u64 v[0:1], v[12:13], 0, s[2:3]
	v_accvgpr_read_b32 v12, a56
	v_mul_f64 v[4:5], v[4:5], s[0:1]
	v_accvgpr_read_b32 v14, a58
	v_accvgpr_read_b32 v15, a59
	global_store_dwordx4 v[0:1], v[4:7], off
	v_accvgpr_read_b32 v13, a57
	s_waitcnt lgkmcnt(0)
	v_mul_f64 v[2:3], v[14:15], v[10:11]
	v_mul_f64 v[4:5], v[14:15], v[8:9]
	v_fmac_f64_e32 v[2:3], v[12:13], v[8:9]
	v_fma_f64 v[4:5], v[12:13], v[10:11], -v[4:5]
	v_mul_f64 v[2:3], v[2:3], s[0:1]
	v_mul_f64 v[4:5], v[4:5], s[0:1]
	v_lshl_add_u64 v[0:1], v[0:1], 0, s[2:3]
	global_store_dwordx4 v[0:1], v[2:5], off
	s_and_b64 exec, exec, vcc
	s_cbranch_execz .LBB0_31
; %bb.30:
	v_accvgpr_read_b32 v17, a1
	v_accvgpr_read_b32 v16, a0
	global_load_dwordx4 v[2:5], v[16:17], off offset:2160
	ds_read_b128 v[6:9], v50 offset:2160
	ds_read_b128 v[10:13], v50 offset:4464
	v_lshl_add_u64 v[14:15], s[4:5], 4, v[0:1]
	s_movk_i32 s4, 0x1000
	v_add_co_u32_e32 v16, vcc, s4, v16
	s_waitcnt vmcnt(0) lgkmcnt(1)
	v_mul_f64 v[0:1], v[8:9], v[4:5]
	v_mul_f64 v[4:5], v[6:7], v[4:5]
	v_fmac_f64_e32 v[0:1], v[6:7], v[2:3]
	v_fma_f64 v[2:3], v[2:3], v[8:9], -v[4:5]
	v_mul_f64 v[0:1], v[0:1], s[0:1]
	v_mul_f64 v[2:3], v[2:3], s[0:1]
	v_addc_co_u32_e32 v17, vcc, 0, v17, vcc
	global_store_dwordx4 v[14:15], v[0:3], off
	global_load_dwordx4 v[0:3], v[16:17], off offset:368
	v_lshl_add_u64 v[8:9], v[14:15], 0, s[2:3]
	s_waitcnt vmcnt(0) lgkmcnt(0)
	v_mul_f64 v[4:5], v[12:13], v[2:3]
	v_mul_f64 v[2:3], v[10:11], v[2:3]
	v_fmac_f64_e32 v[4:5], v[10:11], v[0:1]
	v_fma_f64 v[2:3], v[0:1], v[12:13], -v[2:3]
	v_mul_f64 v[0:1], v[4:5], s[0:1]
	v_mul_f64 v[2:3], v[2:3], s[0:1]
	global_store_dwordx4 v[8:9], v[0:3], off
	global_load_dwordx4 v[0:3], v[16:17], off offset:2672
	ds_read_b128 v[4:7], v50 offset:6768
	s_waitcnt vmcnt(0) lgkmcnt(0)
	v_mul_f64 v[10:11], v[6:7], v[2:3]
	v_mul_f64 v[2:3], v[4:5], v[2:3]
	v_fmac_f64_e32 v[10:11], v[4:5], v[0:1]
	v_fma_f64 v[2:3], v[0:1], v[6:7], -v[2:3]
	v_mul_f64 v[0:1], v[10:11], s[0:1]
	v_mul_f64 v[2:3], v[2:3], s[0:1]
	v_lshl_add_u64 v[4:5], v[8:9], 0, s[2:3]
	global_store_dwordx4 v[4:5], v[0:3], off
.LBB0_31:
	s_endpgm
	.section	.rodata,"a",@progbits
	.p2align	6, 0x0
	.amdhsa_kernel bluestein_single_back_len432_dim1_dp_op_CI_CI
		.amdhsa_group_segment_fixed_size 13824
		.amdhsa_private_segment_fixed_size 0
		.amdhsa_kernarg_size 104
		.amdhsa_user_sgpr_count 2
		.amdhsa_user_sgpr_dispatch_ptr 0
		.amdhsa_user_sgpr_queue_ptr 0
		.amdhsa_user_sgpr_kernarg_segment_ptr 1
		.amdhsa_user_sgpr_dispatch_id 0
		.amdhsa_user_sgpr_kernarg_preload_length 0
		.amdhsa_user_sgpr_kernarg_preload_offset 0
		.amdhsa_user_sgpr_private_segment_size 0
		.amdhsa_uses_dynamic_stack 0
		.amdhsa_enable_private_segment 0
		.amdhsa_system_sgpr_workgroup_id_x 1
		.amdhsa_system_sgpr_workgroup_id_y 0
		.amdhsa_system_sgpr_workgroup_id_z 0
		.amdhsa_system_sgpr_workgroup_info 0
		.amdhsa_system_vgpr_workitem_id 0
		.amdhsa_next_free_vgpr 329
		.amdhsa_next_free_sgpr 24
		.amdhsa_accum_offset 256
		.amdhsa_reserve_vcc 1
		.amdhsa_float_round_mode_32 0
		.amdhsa_float_round_mode_16_64 0
		.amdhsa_float_denorm_mode_32 3
		.amdhsa_float_denorm_mode_16_64 3
		.amdhsa_dx10_clamp 1
		.amdhsa_ieee_mode 1
		.amdhsa_fp16_overflow 0
		.amdhsa_tg_split 0
		.amdhsa_exception_fp_ieee_invalid_op 0
		.amdhsa_exception_fp_denorm_src 0
		.amdhsa_exception_fp_ieee_div_zero 0
		.amdhsa_exception_fp_ieee_overflow 0
		.amdhsa_exception_fp_ieee_underflow 0
		.amdhsa_exception_fp_ieee_inexact 0
		.amdhsa_exception_int_div_zero 0
	.end_amdhsa_kernel
	.text
.Lfunc_end0:
	.size	bluestein_single_back_len432_dim1_dp_op_CI_CI, .Lfunc_end0-bluestein_single_back_len432_dim1_dp_op_CI_CI
                                        ; -- End function
	.section	.AMDGPU.csdata,"",@progbits
; Kernel info:
; codeLenInByte = 17136
; NumSgprs: 30
; NumVgprs: 256
; NumAgprs: 73
; TotalNumVgprs: 329
; ScratchSize: 0
; MemoryBound: 0
; FloatMode: 240
; IeeeMode: 1
; LDSByteSize: 13824 bytes/workgroup (compile time only)
; SGPRBlocks: 3
; VGPRBlocks: 41
; NumSGPRsForWavesPerEU: 30
; NumVGPRsForWavesPerEU: 329
; AccumOffset: 256
; Occupancy: 1
; WaveLimiterHint : 1
; COMPUTE_PGM_RSRC2:SCRATCH_EN: 0
; COMPUTE_PGM_RSRC2:USER_SGPR: 2
; COMPUTE_PGM_RSRC2:TRAP_HANDLER: 0
; COMPUTE_PGM_RSRC2:TGID_X_EN: 1
; COMPUTE_PGM_RSRC2:TGID_Y_EN: 0
; COMPUTE_PGM_RSRC2:TGID_Z_EN: 0
; COMPUTE_PGM_RSRC2:TIDIG_COMP_CNT: 0
; COMPUTE_PGM_RSRC3_GFX90A:ACCUM_OFFSET: 63
; COMPUTE_PGM_RSRC3_GFX90A:TG_SPLIT: 0
	.text
	.p2alignl 6, 3212836864
	.fill 256, 4, 3212836864
	.type	__hip_cuid_6a12e825b74d95b7,@object ; @__hip_cuid_6a12e825b74d95b7
	.section	.bss,"aw",@nobits
	.globl	__hip_cuid_6a12e825b74d95b7
__hip_cuid_6a12e825b74d95b7:
	.byte	0                               ; 0x0
	.size	__hip_cuid_6a12e825b74d95b7, 1

	.ident	"AMD clang version 19.0.0git (https://github.com/RadeonOpenCompute/llvm-project roc-6.4.0 25133 c7fe45cf4b819c5991fe208aaa96edf142730f1d)"
	.section	".note.GNU-stack","",@progbits
	.addrsig
	.addrsig_sym __hip_cuid_6a12e825b74d95b7
	.amdgpu_metadata
---
amdhsa.kernels:
  - .agpr_count:     73
    .args:
      - .actual_access:  read_only
        .address_space:  global
        .offset:         0
        .size:           8
        .value_kind:     global_buffer
      - .actual_access:  read_only
        .address_space:  global
        .offset:         8
        .size:           8
        .value_kind:     global_buffer
      - .actual_access:  read_only
        .address_space:  global
        .offset:         16
        .size:           8
        .value_kind:     global_buffer
      - .actual_access:  read_only
        .address_space:  global
        .offset:         24
        .size:           8
        .value_kind:     global_buffer
      - .actual_access:  read_only
        .address_space:  global
        .offset:         32
        .size:           8
        .value_kind:     global_buffer
      - .offset:         40
        .size:           8
        .value_kind:     by_value
      - .address_space:  global
        .offset:         48
        .size:           8
        .value_kind:     global_buffer
      - .address_space:  global
        .offset:         56
        .size:           8
        .value_kind:     global_buffer
      - .address_space:  global
        .offset:         64
        .size:           8
        .value_kind:     global_buffer
      - .address_space:  global
        .offset:         72
        .size:           8
        .value_kind:     global_buffer
      - .offset:         80
        .size:           4
        .value_kind:     by_value
      - .address_space:  global
        .offset:         88
        .size:           8
        .value_kind:     global_buffer
      - .address_space:  global
        .offset:         96
        .size:           8
        .value_kind:     global_buffer
    .group_segment_fixed_size: 13824
    .kernarg_segment_align: 8
    .kernarg_segment_size: 104
    .language:       OpenCL C
    .language_version:
      - 2
      - 0
    .max_flat_workgroup_size: 54
    .name:           bluestein_single_back_len432_dim1_dp_op_CI_CI
    .private_segment_fixed_size: 0
    .sgpr_count:     30
    .sgpr_spill_count: 0
    .symbol:         bluestein_single_back_len432_dim1_dp_op_CI_CI.kd
    .uniform_work_group_size: 1
    .uses_dynamic_stack: false
    .vgpr_count:     329
    .vgpr_spill_count: 0
    .wavefront_size: 64
amdhsa.target:   amdgcn-amd-amdhsa--gfx950
amdhsa.version:
  - 1
  - 2
...

	.end_amdgpu_metadata
